;; amdgpu-corpus repo=ROCm/rocFFT kind=compiled arch=gfx1030 opt=O3
	.text
	.amdgcn_target "amdgcn-amd-amdhsa--gfx1030"
	.amdhsa_code_object_version 6
	.protected	bluestein_single_back_len22_dim1_half_op_CI_CI ; -- Begin function bluestein_single_back_len22_dim1_half_op_CI_CI
	.globl	bluestein_single_back_len22_dim1_half_op_CI_CI
	.p2align	8
	.type	bluestein_single_back_len22_dim1_half_op_CI_CI,@function
bluestein_single_back_len22_dim1_half_op_CI_CI: ; @bluestein_single_back_len22_dim1_half_op_CI_CI
; %bb.0:
	s_load_dwordx4 s[12:15], s[4:5], 0x28
	v_lshrrev_b32_e32 v3, 1, v0
	v_mov_b32_e32 v2, 0
	s_mov_b32 s0, exec_lo
	v_lshl_or_b32 v1, s6, 5, v3
	s_waitcnt lgkmcnt(0)
	v_cmpx_gt_u64_e64 s[12:13], v[1:2]
	s_cbranch_execz .LBB0_10
; %bb.1:
	s_clause 0x1
	s_load_dwordx4 s[8:11], s[4:5], 0x18
	s_load_dwordx4 s[0:3], s[4:5], 0x0
	v_and_b32_e32 v24, 1, v0
	v_mul_u32_u24_e32 v31, 22, v3
	s_load_dwordx2 s[4:5], s[4:5], 0x38
	v_lshlrev_b32_e32 v30, 2, v24
	v_lshl_or_b32 v22, v31, 2, v30
	s_waitcnt lgkmcnt(0)
	s_load_dwordx4 s[16:19], s[8:9], 0x0
	s_clause 0x1
	global_load_dword v25, v30, s[0:1]
	global_load_dword v26, v30, s[0:1] offset:8
	s_waitcnt lgkmcnt(0)
	v_mad_u64_u32 v[4:5], null, s18, v1, 0
	v_mul_lo_u32 v7, s17, v24
	s_lshl_b64 s[6:7], s[16:17], 3
	v_mov_b32_e32 v2, v5
	v_mad_u64_u32 v[5:6], null, s19, v1, v[2:3]
	v_mul_lo_u32 v6, s16, v24
	v_or_b32_e32 v3, v31, v24
	v_lshlrev_b32_e32 v28, 2, v3
	v_lshlrev_b64 v[4:5], 2, v[4:5]
	v_lshlrev_b64 v[6:7], 2, v[6:7]
	v_add_co_u32 v0, vcc_lo, s14, v4
	v_add_co_ci_u32_e32 v2, vcc_lo, s15, v5, vcc_lo
	v_add_co_u32 v4, vcc_lo, v0, v6
	v_add_co_ci_u32_e32 v5, vcc_lo, v2, v7, vcc_lo
	;; [unrolled: 2-line block ×3, first 2 shown]
	s_clause 0x1
	global_load_dword v2, v[4:5], off
	global_load_dword v8, v[6:7], off
	v_add_co_u32 v4, vcc_lo, v6, s6
	v_add_co_ci_u32_e32 v5, vcc_lo, s7, v7, vcc_lo
	v_add_co_u32 v6, vcc_lo, v4, s6
	v_add_co_ci_u32_e32 v7, vcc_lo, s7, v5, vcc_lo
	global_load_dword v9, v[4:5], off
	v_add_co_u32 v4, vcc_lo, v6, s6
	v_add_co_ci_u32_e32 v5, vcc_lo, s7, v7, vcc_lo
	s_clause 0x1
	global_load_dword v27, v30, s[0:1] offset:16
	global_load_dword v23, v30, s[0:1] offset:24
	s_clause 0x1
	global_load_dword v10, v[6:7], off
	global_load_dword v11, v[4:5], off
	v_add_co_u32 v4, vcc_lo, v4, s6
	v_add_co_ci_u32_e32 v5, vcc_lo, s7, v5, vcc_lo
	s_clause 0x3
	global_load_dword v21, v30, s[0:1] offset:32
	global_load_dword v20, v30, s[0:1] offset:40
	;; [unrolled: 1-line block ×4, first 2 shown]
	v_add_co_u32 v6, vcc_lo, v4, s6
	v_add_co_ci_u32_e32 v7, vcc_lo, s7, v5, vcc_lo
	global_load_dword v12, v[4:5], off
	v_add_co_u32 v4, vcc_lo, v6, s6
	v_add_co_ci_u32_e32 v5, vcc_lo, s7, v7, vcc_lo
	global_load_dword v13, v[6:7], off
	;; [unrolled: 3-line block ×4, first 2 shown]
	v_add_co_u32 v6, vcc_lo, v4, s6
	v_add_co_ci_u32_e32 v7, vcc_lo, s7, v5, vcc_lo
	global_load_dword v17, v30, s[0:1] offset:64
	global_load_dword v4, v[4:5], off
	global_load_dword v5, v[6:7], off
	s_clause 0x1
	global_load_dword v16, v30, s[0:1] offset:72
	global_load_dword v0, v30, s[0:1] offset:80
	s_load_dwordx4 s[8:11], s[10:11], 0x0
	v_cmp_eq_u32_e32 vcc_lo, 0, v24
	s_waitcnt vmcnt(19)
	v_lshrrev_b32_e32 v6, 16, v2
	v_mul_f16_sdwa v3, v25, v2 dst_sel:DWORD dst_unused:UNUSED_PAD src0_sel:WORD_1 src1_sel:DWORD
	s_waitcnt vmcnt(18)
	v_lshrrev_b32_e32 v29, 16, v8
	v_mul_f16_sdwa v7, v25, v6 dst_sel:DWORD dst_unused:UNUSED_PAD src0_sel:WORD_1 src1_sel:DWORD
	v_fma_f16 v3, v25, v6, -v3
	v_mul_f16_sdwa v6, v26, v8 dst_sel:DWORD dst_unused:UNUSED_PAD src0_sel:WORD_1 src1_sel:DWORD
	v_fmac_f16_e32 v7, v25, v2
	v_mul_f16_sdwa v2, v26, v29 dst_sel:DWORD dst_unused:UNUSED_PAD src0_sel:WORD_1 src1_sel:DWORD
	v_fma_f16 v6, v26, v29, -v6
	s_waitcnt vmcnt(17)
	v_lshrrev_b32_e32 v32, 16, v9
	s_waitcnt vmcnt(16)
	v_mul_f16_sdwa v33, v27, v9 dst_sel:DWORD dst_unused:UNUSED_PAD src0_sel:WORD_1 src1_sel:DWORD
	v_pack_b32_f16 v3, v7, v3
	v_fmac_f16_e32 v2, v26, v8
	v_mul_f16_sdwa v7, v27, v32 dst_sel:DWORD dst_unused:UNUSED_PAD src0_sel:WORD_1 src1_sel:DWORD
	s_waitcnt vmcnt(14)
	v_lshrrev_b32_e32 v29, 16, v10
	v_fma_f16 v8, v27, v32, -v33
	v_mul_f16_sdwa v32, v23, v10 dst_sel:DWORD dst_unused:UNUSED_PAD src0_sel:WORD_1 src1_sel:DWORD
	ds_write_b32 v28, v3
	v_pack_b32_f16 v2, v2, v6
	v_fmac_f16_e32 v7, v27, v9
	v_mul_f16_sdwa v3, v23, v29 dst_sel:DWORD dst_unused:UNUSED_PAD src0_sel:WORD_1 src1_sel:DWORD
	s_waitcnt vmcnt(13)
	v_lshrrev_b32_e32 v6, 16, v11
	v_fma_f16 v9, v23, v29, -v32
	s_waitcnt vmcnt(12)
	v_mul_f16_sdwa v29, v21, v11 dst_sel:DWORD dst_unused:UNUSED_PAD src0_sel:WORD_1 src1_sel:DWORD
	v_pack_b32_f16 v7, v7, v8
	v_fmac_f16_e32 v3, v23, v10
	v_mul_f16_sdwa v8, v21, v6 dst_sel:DWORD dst_unused:UNUSED_PAD src0_sel:WORD_1 src1_sel:DWORD
	s_waitcnt vmcnt(8)
	v_lshrrev_b32_e32 v10, 16, v12
	v_mul_f16_sdwa v32, v20, v12 dst_sel:DWORD dst_unused:UNUSED_PAD src0_sel:WORD_1 src1_sel:DWORD
	v_fma_f16 v6, v21, v6, -v29
	v_pack_b32_f16 v3, v3, v9
	v_fmac_f16_e32 v8, v21, v11
	v_mul_f16_sdwa v9, v20, v10 dst_sel:DWORD dst_unused:UNUSED_PAD src0_sel:WORD_1 src1_sel:DWORD
	s_waitcnt vmcnt(7)
	v_lshrrev_b32_e32 v11, 16, v13
	v_fma_f16 v10, v20, v10, -v32
	v_mul_f16_sdwa v29, v19, v13 dst_sel:DWORD dst_unused:UNUSED_PAD src0_sel:WORD_1 src1_sel:DWORD
	v_pack_b32_f16 v6, v8, v6
	v_fmac_f16_e32 v9, v20, v12
	s_waitcnt vmcnt(6)
	v_lshrrev_b32_e32 v8, 16, v14
	v_mul_f16_sdwa v12, v19, v11 dst_sel:DWORD dst_unused:UNUSED_PAD src0_sel:WORD_1 src1_sel:DWORD
	v_fma_f16 v11, v19, v11, -v29
	v_mul_f16_sdwa v29, v18, v14 dst_sel:DWORD dst_unused:UNUSED_PAD src0_sel:WORD_1 src1_sel:DWORD
	v_pack_b32_f16 v9, v9, v10
	v_mul_f16_sdwa v10, v18, v8 dst_sel:DWORD dst_unused:UNUSED_PAD src0_sel:WORD_1 src1_sel:DWORD
	v_fmac_f16_e32 v12, v19, v13
	s_waitcnt vmcnt(5)
	v_lshrrev_b32_e32 v13, 16, v15
	v_fma_f16 v8, v18, v8, -v29
	s_waitcnt vmcnt(4)
	v_mul_f16_sdwa v29, v17, v15 dst_sel:DWORD dst_unused:UNUSED_PAD src0_sel:WORD_1 src1_sel:DWORD
	v_fmac_f16_e32 v10, v18, v14
	s_waitcnt vmcnt(3)
	v_lshrrev_b32_e32 v14, 16, v4
	s_waitcnt vmcnt(2)
	v_lshrrev_b32_e32 v33, 16, v5
	v_mul_f16_sdwa v32, v17, v13 dst_sel:DWORD dst_unused:UNUSED_PAD src0_sel:WORD_1 src1_sel:DWORD
	v_fma_f16 v13, v17, v13, -v29
	s_waitcnt vmcnt(1)
	v_mul_f16_sdwa v29, v16, v4 dst_sel:DWORD dst_unused:UNUSED_PAD src0_sel:WORD_1 src1_sel:DWORD
	v_mul_f16_sdwa v34, v16, v14 dst_sel:DWORD dst_unused:UNUSED_PAD src0_sel:WORD_1 src1_sel:DWORD
	s_waitcnt vmcnt(0)
	v_mul_f16_sdwa v35, v0, v5 dst_sel:DWORD dst_unused:UNUSED_PAD src0_sel:WORD_1 src1_sel:DWORD
	v_mul_f16_sdwa v36, v0, v33 dst_sel:DWORD dst_unused:UNUSED_PAD src0_sel:WORD_1 src1_sel:DWORD
	v_fmac_f16_e32 v32, v17, v15
	v_fma_f16 v14, v16, v14, -v29
	v_fmac_f16_e32 v34, v16, v4
	v_fma_f16 v4, v0, v33, -v35
	v_fmac_f16_e32 v36, v0, v5
	v_pack_b32_f16 v5, v12, v11
	v_pack_b32_f16 v8, v10, v8
	;; [unrolled: 1-line block ×5, first 2 shown]
	ds_write2_b32 v22, v2, v7 offset0:2 offset1:4
	ds_write2_b32 v22, v3, v6 offset0:6 offset1:8
	;; [unrolled: 1-line block ×5, first 2 shown]
	s_waitcnt lgkmcnt(0)
	s_barrier
	buffer_gl0_inv
	ds_read_b32 v10, v28
	ds_read2_b32 v[8:9], v22 offset0:2 offset1:4
	ds_read2_b32 v[2:3], v22 offset0:18 offset1:20
	ds_read2_b32 v[6:7], v22 offset0:6 offset1:8
	ds_read2_b32 v[4:5], v22 offset0:14 offset1:16
	v_mov_b32_e32 v11, 0xb853
	v_mov_b32_e32 v14, 0xbbeb
	;; [unrolled: 1-line block ×3, first 2 shown]
	ds_read2_b32 v[12:13], v22 offset0:10 offset1:12
	v_mov_b32_e32 v32, 0xbb47
	v_mov_b32_e32 v33, 0x3482
	;; [unrolled: 1-line block ×5, first 2 shown]
	v_mul_u32_u24_e32 v29, 11, v24
	s_waitcnt lgkmcnt(0)
	s_barrier
	buffer_gl0_inv
	v_add_lshl_u32 v29, v31, v29, 2
	v_lshlrev_b32_e32 v31, 2, v31
	v_alignbit_b32 v47, s0, v10, 16
	v_pk_add_f16 v37, v10, v8
	v_pk_add_f16 v38, v3, v8
	v_pk_add_f16 v8, v8, v3 neg_lo:[0,1] neg_hi:[0,1]
	v_pk_add_f16 v39, v2, v9
	v_pk_add_f16 v40, v9, v2 neg_lo:[0,1] neg_hi:[0,1]
	;; [unrolled: 2-line block ×4, first 2 shown]
	v_pk_add_f16 v9, v37, v9
	v_mul_f16_sdwa v37, v8, v11 dst_sel:DWORD dst_unused:UNUSED_PAD src0_sel:WORD_1 src1_sel:DWORD
	v_lshrrev_b32_e32 v48, 16, v38
	v_mul_f16_e32 v49, 0xbb47, v8
	v_mul_f16_e32 v50, 0xbbeb, v8
	v_mul_f16_e32 v51, 0xba0c, v8
	v_lshrrev_b32_e32 v52, 16, v39
	v_mul_f16_e32 v53, 0xba0c, v40
	v_mul_f16_e32 v54, 0x3482, v40
	v_mul_f16_e32 v55, 0x3beb, v40
	;; [unrolled: 4-line block ×4, first 2 shown]
	v_mul_f16_sdwa v64, v8, v14 dst_sel:DWORD dst_unused:UNUSED_PAD src0_sel:WORD_1 src1_sel:DWORD
	v_mul_f16_sdwa v65, v8, v15 dst_sel:DWORD dst_unused:UNUSED_PAD src0_sel:WORD_1 src1_sel:DWORD
	v_pk_mul_f16 v66, 0x3abb36a6, v38
	v_pk_mul_f16 v67, 0xbbad, v38 op_sel_hi:[0,1]
	v_mul_f16_sdwa v32, v40, v32 dst_sel:DWORD dst_unused:UNUSED_PAD src0_sel:WORD_1 src1_sel:DWORD
	v_mul_f16_sdwa v33, v40, v33 dst_sel:DWORD dst_unused:UNUSED_PAD src0_sel:WORD_1 src1_sel:DWORD
	;; [unrolled: 1-line block ×3, first 2 shown]
	v_pk_mul_f16 v68, 0x36a6b93d, v39
	v_pk_add_f16 v6, v9, v6
	v_fmamk_f16 v9, v48, 0x36a6, v49
	v_fma_f16 v49, v48, 0x36a6, -v49
	v_fmamk_f16 v85, v48, 0xb08e, v50
	v_fma_f16 v50, v48, 0xb08e, -v50
	;; [unrolled: 2-line block ×12, first 2 shown]
	v_fma_f16 v63, v38, 0x3abb, -v37
	v_fmac_f16_e32 v37, 0x3abb, v38
	v_fma_f16 v93, v38, 0xb08e, -v64
	v_fmac_f16_e32 v64, 0xb08e, v38
	v_fma_f16 v94, v38, 0xb93d, -v65
	v_fmac_f16_e32 v65, 0xb93d, v38
	v_pk_fma_f16 v38, 0xbb47b853, v8, v66 op_sel:[0,0,1] op_sel_hi:[1,1,0] neg_lo:[0,1,0] neg_hi:[0,1,0]
	v_pk_fma_f16 v66, 0xbb47b853, v8, v66 op_sel:[0,0,1] op_sel_hi:[1,1,0]
	v_pk_mul_f16 v69, 0x3abb, v39 op_sel_hi:[0,1]
	v_mul_f16_sdwa v14, v42, v14 dst_sel:DWORD dst_unused:UNUSED_PAD src0_sel:WORD_1 src1_sel:DWORD
	v_mul_f16_sdwa v70, v42, v35 dst_sel:DWORD dst_unused:UNUSED_PAD src0_sel:WORD_1 src1_sel:DWORD
	;; [unrolled: 1-line block ×3, first 2 shown]
	v_pk_mul_f16 v72, 0xb08ebbad, v41
	v_pk_fma_f16 v95, 0xb482, v8, v67 op_sel:[0,0,1] op_sel_hi:[0,1,0] neg_lo:[0,1,0] neg_hi:[0,1,0]
	v_pk_fma_f16 v8, 0xb482, v8, v67 op_sel:[0,0,1] op_sel_hi:[0,1,0]
	v_fma_f16 v67, v39, 0x36a6, -v32
	v_fmac_f16_e32 v32, 0x36a6, v39
	v_fma_f16 v96, v39, 0xbbad, -v33
	v_fmac_f16_e32 v33, 0xbbad, v39
	v_fma_f16 v97, v39, 0xb08e, -v34
	v_fmac_f16_e32 v34, 0xb08e, v39
	v_pk_fma_f16 v39, 0xba0cbb47, v40, v68 op_sel:[0,0,1] op_sel_hi:[1,1,0] neg_lo:[0,1,0] neg_hi:[0,1,0]
	v_pk_fma_f16 v68, 0xba0cbb47, v40, v68 op_sel:[0,0,1] op_sel_hi:[1,1,0]
	v_pk_add_f16 v6, v6, v7
	v_add_f16_e32 v7, v10, v63
	v_add_f16_e32 v63, v10, v93
	v_add_f16_sdwa v50, v10, v50 dst_sel:DWORD dst_unused:UNUSED_PAD src0_sel:WORD_1 src1_sel:DWORD
	v_add_f16_e32 v93, v10, v94
	v_add_f16_sdwa v48, v10, v48 dst_sel:DWORD dst_unused:UNUSED_PAD src0_sel:WORD_1 src1_sel:DWORD
	v_bfi_b32 v94, 0xffff, v66, v38
	v_alignbit_b32 v66, s0, v66, 16
	v_pk_mul_f16 v73, 0xb93d, v41 op_sel_hi:[0,1]
	v_pk_fma_f16 v98, 0x3853, v40, v69 op_sel:[0,0,1] op_sel_hi:[0,1,0] neg_lo:[0,1,0] neg_hi:[0,1,0]
	v_pk_fma_f16 v40, 0x3853, v40, v69 op_sel:[0,0,1] op_sel_hi:[0,1,0]
	v_fma_f16 v69, v41, 0xb08e, -v14
	v_fmac_f16_e32 v14, 0xb08e, v41
	v_fma_f16 v99, v41, 0x36a6, -v70
	v_fmac_f16_e32 v70, 0x36a6, v41
	;; [unrolled: 2-line block ×3, first 2 shown]
	v_pk_fma_f16 v41, 0x3482bbeb, v42, v72 op_sel:[0,0,1] op_sel_hi:[1,1,0] neg_lo:[0,1,0] neg_hi:[0,1,0]
	v_pk_fma_f16 v72, 0x3482bbeb, v42, v72 op_sel:[0,0,1] op_sel_hi:[1,1,0]
	v_pk_add_f16 v8, v10, v8 op_sel:[1,0] op_sel_hi:[0,1]
	v_bfi_b32 v111, 0xffff, v68, v39
	v_alignbit_b32 v68, s0, v68, 16
	v_pk_add_f16 v6, v6, v12
	v_add_f16_e32 v50, v54, v50
	v_add_f16_e32 v48, v52, v48
	v_pk_add_f16 v52, v10, v94 op_sel:[1,0] op_sel_hi:[0,1]
	v_pk_add_f16 v54, v10, v66
	v_pk_add_f16 v45, v13, v12
	v_pk_add_f16 v46, v12, v13 neg_lo:[0,1] neg_hi:[0,1]
	v_pk_add_f16 v47, v47, v95
	v_alignbit_b32 v95, s0, v95, 16
	v_add_f16_e32 v37, v10, v37
	v_add_f16_sdwa v38, v10, v38 dst_sel:DWORD dst_unused:UNUSED_PAD src0_sel:WORD_1 src1_sel:DWORD
	v_bfi_b32 v113, 0xffff, v72, v41
	v_alignbit_b32 v72, s0, v72, 16
	v_pk_add_f16 v8, v40, v8
	v_pk_add_f16 v6, v6, v13
	;; [unrolled: 1-line block ×4, first 2 shown]
	v_add_f16_sdwa v9, v10, v9 dst_sel:DWORD dst_unused:UNUSED_PAD src0_sel:WORD_1 src1_sel:DWORD
	v_add_f16_sdwa v49, v10, v49 dst_sel:DWORD dst_unused:UNUSED_PAD src0_sel:WORD_1 src1_sel:DWORD
	;; [unrolled: 1-line block ×3, first 2 shown]
	v_add_f16_e32 v64, v10, v64
	v_add_f16_sdwa v86, v10, v86 dst_sel:DWORD dst_unused:UNUSED_PAD src0_sel:WORD_1 src1_sel:DWORD
	v_mul_f16_sdwa v11, v44, v11 dst_sel:DWORD dst_unused:UNUSED_PAD src0_sel:WORD_1 src1_sel:DWORD
	v_mul_f16_sdwa v74, v44, v15 dst_sel:DWORD dst_unused:UNUSED_PAD src0_sel:WORD_1 src1_sel:DWORD
	;; [unrolled: 1-line block ×3, first 2 shown]
	v_pk_mul_f16 v76, 0xb93db08e, v43
	v_lshrrev_b32_e32 v79, 16, v45
	v_mul_f16_e32 v80, 0x3853, v46
	v_mul_f16_e32 v82, 0x3b47, v46
	v_pk_mul_f16 v77, 0x36a6, v43 op_sel_hi:[0,1]
	v_mul_f16_sdwa v36, v46, v36 dst_sel:DWORD dst_unused:UNUSED_PAD src0_sel:WORD_1 src1_sel:DWORD
	v_pk_mul_f16 v78, 0xbbad3abb, v45
	v_mul_f16_sdwa v15, v46, v15 dst_sel:DWORD dst_unused:UNUSED_PAD src0_sel:WORD_1 src1_sel:DWORD
	v_mul_f16_sdwa v35, v46, v35 dst_sel:DWORD dst_unused:UNUSED_PAD src0_sel:WORD_1 src1_sel:DWORD
	v_pk_fma_f16 v101, 0xba0c, v42, v73 op_sel:[0,0,1] op_sel_hi:[0,1,0] neg_lo:[0,1,0] neg_hi:[0,1,0]
	v_add_f16_e32 v65, v10, v65
	v_alignbit_b32 v112, s0, v98, 16
	v_pk_add_f16 v10, v10, v95
	v_add_f16_e32 v12, v32, v37
	v_add_f16_e32 v38, v39, v38
	v_pk_add_f16 v4, v6, v4
	v_pk_add_f16 v6, v113, v13
	;; [unrolled: 1-line block ×3, first 2 shown]
	v_add_f16_e32 v9, v51, v9
	v_add_f16_e32 v32, v53, v49
	;; [unrolled: 1-line block ×7, first 2 shown]
	v_mul_f16_e32 v81, 0xba0c, v46
	v_pk_mul_f16 v83, 0xb08e, v45 op_sel_hi:[0,1]
	v_pk_fma_f16 v42, 0xba0c, v42, v73 op_sel:[0,0,1] op_sel_hi:[0,1,0]
	v_fma_f16 v73, v43, 0xb93d, -v74
	v_fmac_f16_e32 v74, 0xb93d, v43
	v_fma_f16 v102, v43, 0x3abb, -v11
	v_fmac_f16_e32 v11, 0x3abb, v43
	;; [unrolled: 2-line block ×3, first 2 shown]
	v_pk_fma_f16 v43, 0x3bebba0c, v44, v76 op_sel:[0,0,1] op_sel_hi:[1,1,0] neg_lo:[0,1,0] neg_hi:[0,1,0]
	v_pk_fma_f16 v76, 0x3bebba0c, v44, v76 op_sel:[0,0,1] op_sel_hi:[1,1,0]
	v_fmamk_f16 v107, v79, 0x3abb, v80
	v_fma_f16 v80, v79, 0x3abb, -v80
	v_fmamk_f16 v108, v79, 0x36a6, v82
	v_fma_f16 v82, v79, 0x36a6, -v82
	v_mul_f16_e32 v79, 0xb93d, v79
	v_add_f16_e32 v7, v67, v7
	v_pk_fma_f16 v104, 0x3b47, v44, v77 op_sel:[0,0,1] op_sel_hi:[0,1,0] neg_lo:[0,1,0] neg_hi:[0,1,0]
	v_pk_fma_f16 v44, 0x3b47, v44, v77 op_sel:[0,0,1] op_sel_hi:[0,1,0]
	v_fma_f16 v77, v45, 0xbbad, -v36
	v_fmac_f16_e32 v36, 0xbbad, v45
	v_fma_f16 v105, v45, 0xb93d, -v15
	v_fmac_f16_e32 v15, 0xb93d, v45
	;; [unrolled: 2-line block ×3, first 2 shown]
	v_pk_fma_f16 v45, 0x3853b482, v46, v78 op_sel:[0,0,1] op_sel_hi:[1,1,0] neg_lo:[0,1,0] neg_hi:[0,1,0]
	v_pk_fma_f16 v109, 0x3853b482, v46, v78 op_sel:[0,0,1] op_sel_hi:[1,1,0]
	v_alignbit_b32 v114, s0, v101, 16
	v_pk_add_f16 v39, v98, v47
	v_pk_add_f16 v10, v112, v10
	v_add_f16_e32 v34, v34, v65
	v_pk_mul_f16 v84, 0x3853b482, v46
	v_add_f16_e32 v12, v14, v12
	v_add_f16_e32 v47, v58, v50
	;; [unrolled: 1-line block ×3, first 2 shown]
	v_pk_add_f16 v5, v4, v5
	v_lshlrev_b32_e32 v13, 16, v13
	v_add_f16_e32 v14, v57, v32
	v_add_f16_e32 v32, v99, v37
	;; [unrolled: 1-line block ×6, first 2 shown]
	v_pk_fma_f16 v110, 0xbbeb, v46, v83 op_sel:[0,0,1] op_sel_hi:[0,1,0] neg_lo:[0,1,0] neg_hi:[0,1,0]
	v_pk_fma_f16 v83, 0xbbeb, v46, v83 op_sel:[0,0,1] op_sel_hi:[0,1,0]
	v_pack_b32_f16 v62, v62, v78
	v_pk_add_f16 v78, v79, v81 neg_lo:[0,1] neg_hi:[0,1]
	v_fmamk_f16 v46, v46, 0xba0c, v79
	v_bfi_b32 v79, 0xffff, v76, v43
	v_add_f16_e32 v7, v69, v7
	v_add_f16_e32 v9, v55, v9
	v_bfi_b32 v81, 0xffff, v109, v45
	v_alignbit_b32 v109, s0, v104, 16
	v_pk_add_f16 v8, v42, v8
	v_pk_add_f16 v39, v101, v39
	;; [unrolled: 1-line block ×3, first 2 shown]
	v_add_f16_e32 v34, v71, v34
	v_add_f16_e32 v48, v56, v48
	;; [unrolled: 1-line block ×3, first 2 shown]
	v_bfi_b32 v42, 0xffff, v47, v84
	v_add_f16_e32 v38, v43, v38
	v_pk_add_f16 v2, v5, v2
	v_pk_add_f16 v5, v76, v13
	v_add_f16_e32 v14, v61, v14
	v_add_f16_e32 v32, v102, v32
	;; [unrolled: 1-line block ×8, first 2 shown]
	v_pk_add_f16 v6, v79, v6
	v_alignbit_b32 v115, s0, v110, 16
	v_pk_add_f16 v8, v44, v8
	v_pk_add_f16 v39, v104, v39
	;; [unrolled: 1-line block ×3, first 2 shown]
	v_add_f16_e32 v34, v75, v34
	v_add_f16_e32 v41, v60, v48
	;; [unrolled: 1-line block ×4, first 2 shown]
	v_pk_add_f16 v38, v62, v42
	v_bfi_b32 v5, 0xffff, v78, v5
	v_add_f16_e32 v12, v80, v14
	v_add_f16_e32 v14, v105, v32
	;; [unrolled: 1-line block ×8, first 2 shown]
	v_pk_add_f16 v6, v81, v6
	v_pk_add_f16 v8, v83, v8
	;; [unrolled: 1-line block ×4, first 2 shown]
	v_add_f16_e32 v34, v35, v34
	v_add_f16_e32 v35, v82, v41
	v_pk_add_f16 v2, v2, v3
	v_pk_add_f16 v3, v5, v38
	v_pack_b32_f16 v13, v15, v33
	v_pack_b32_f16 v14, v14, v32
	;; [unrolled: 1-line block ×3, first 2 shown]
	v_alignbit_b32 v5, v9, v6, 16
	v_pack_b32_f16 v6, v7, v6
	v_alignbit_b32 v15, v37, v8, 16
	v_pack_b32_f16 v7, v10, v8
	v_pack_b32_f16 v32, v34, v35
	v_alignbit_b32 v8, v12, v3, 16
	v_pack_b32_f16 v3, v11, v3
	ds_write2_b32 v29, v14, v13 offset0:3 offset1:4
	ds_write_b32 v29, v33 offset:40
	ds_write2_b32 v29, v6, v5 offset0:1 offset1:2
	ds_write2_b32 v29, v7, v15 offset0:5 offset1:6
	ds_write2_b32 v29, v2, v32 offset1:7
	ds_write2_b32 v29, v3, v8 offset0:8 offset1:9
	s_waitcnt lgkmcnt(0)
	s_barrier
	buffer_gl0_inv
	ds_read2_b32 v[8:9], v22 offset0:2 offset1:4
	ds_read2_b32 v[6:7], v22 offset0:6 offset1:8
	;; [unrolled: 1-line block ×4, first 2 shown]
	ds_read_b32 v37, v28
	ds_read_b32 v38, v22 offset:76
	v_add_co_u32 v2, s6, s0, v30
	v_add_co_ci_u32_e64 v3, null, s1, 0, s6
	v_mov_b32_e32 v14, 0
	v_mov_b32_e32 v15, 0
                                        ; implicit-def: $vgpr39
	s_and_saveexec_b32 s6, vcc_lo
	s_cbranch_execz .LBB0_3
; %bb.2:
	ds_read2_b32 v[4:5], v31 offset0:10 offset1:21
	v_mov_b32_e32 v14, 10
	v_mov_b32_e32 v15, 0
	s_waitcnt lgkmcnt(0)
	v_lshrrev_b32_e32 v36, 16, v4
	v_lshrrev_b32_e32 v39, 16, v5
.LBB0_3:
	s_or_b32 exec_lo, exec_lo, s6
	v_lshlrev_b32_e32 v14, 2, v14
	s_clause 0x4
	global_load_dword v32, v30, s[2:3]
	global_load_dword v33, v30, s[2:3] offset:8
	global_load_dword v35, v30, s[2:3] offset:16
	;; [unrolled: 1-line block ×4, first 2 shown]
	s_waitcnt lgkmcnt(3)
	v_lshrrev_b32_e32 v41, 16, v12
	v_lshrrev_b32_e32 v43, 16, v13
	s_waitcnt lgkmcnt(2)
	v_lshrrev_b32_e32 v45, 16, v10
	global_load_dword v14, v14, s[2:3]
	v_lshrrev_b32_e32 v47, 16, v11
	s_waitcnt lgkmcnt(0)
	v_lshrrev_b32_e32 v49, 16, v38
	v_lshrrev_b32_e32 v40, 16, v37
	;; [unrolled: 1-line block ×6, first 2 shown]
	s_waitcnt vmcnt(5)
	v_mul_f16_sdwa v50, v41, v32 dst_sel:DWORD dst_unused:UNUSED_PAD src0_sel:DWORD src1_sel:WORD_1
	v_mul_f16_sdwa v51, v12, v32 dst_sel:DWORD dst_unused:UNUSED_PAD src0_sel:DWORD src1_sel:WORD_1
	s_waitcnt vmcnt(4)
	v_mul_f16_sdwa v53, v13, v33 dst_sel:DWORD dst_unused:UNUSED_PAD src0_sel:DWORD src1_sel:WORD_1
	v_mul_f16_sdwa v52, v43, v33 dst_sel:DWORD dst_unused:UNUSED_PAD src0_sel:DWORD src1_sel:WORD_1
	;; [unrolled: 3-line block ×5, first 2 shown]
	v_fma_f16 v12, v12, v32, -v50
	v_fmac_f16_e32 v51, v41, v32
	v_fmac_f16_e32 v53, v43, v33
	s_waitcnt vmcnt(0)
	v_mul_f16_sdwa v41, v39, v14 dst_sel:DWORD dst_unused:UNUSED_PAD src0_sel:DWORD src1_sel:WORD_1
	v_mul_f16_sdwa v43, v5, v14 dst_sel:DWORD dst_unused:UNUSED_PAD src0_sel:DWORD src1_sel:WORD_1
	v_fma_f16 v13, v13, v33, -v52
	v_fma_f16 v10, v10, v35, -v54
	v_fmac_f16_e32 v55, v45, v35
	v_fma_f16 v11, v11, v15, -v56
	v_fmac_f16_e32 v57, v47, v15
	;; [unrolled: 2-line block ×4, first 2 shown]
	v_sub_f16_e32 v39, v37, v12
	v_sub_f16_e32 v41, v40, v51
	;; [unrolled: 1-line block ×10, first 2 shown]
	v_fma_f16 v37, v37, 2.0, -v39
	v_fma_f16 v40, v40, 2.0, -v41
	;; [unrolled: 1-line block ×10, first 2 shown]
	v_sub_f16_e32 v11, v4, v5
	v_sub_f16_e32 v12, v36, v43
	v_pack_b32_f16 v37, v37, v40
	v_pack_b32_f16 v5, v39, v41
	;; [unrolled: 1-line block ×10, first 2 shown]
	ds_write_b32 v28, v37
	ds_write2_b32 v22, v5, v13 offset0:11 offset1:13
	ds_write2_b32 v22, v8, v9 offset0:2 offset1:4
	;; [unrolled: 1-line block ×4, first 2 shown]
	ds_write_b32 v22, v38 offset:76
	s_and_saveexec_b32 s2, vcc_lo
	s_cbranch_execz .LBB0_5
; %bb.4:
	v_fma_f16 v4, v4, 2.0, -v11
	v_fma_f16 v5, v36, 2.0, -v12
	v_pack_b32_f16 v4, v4, v5
	v_perm_b32 v5, v12, v11, 0x5040100
	ds_write2_b32 v31, v4, v5 offset0:10 offset1:21
.LBB0_5:
	s_or_b32 exec_lo, exec_lo, s2
	s_waitcnt lgkmcnt(0)
	s_barrier
	buffer_gl0_inv
	global_load_dword v2, v[2:3], off offset:88
	s_add_u32 s0, s0, 0x58
	s_addc_u32 s1, s1, 0
	s_clause 0x9
	global_load_dword v9, v30, s[0:1] offset:8
	global_load_dword v13, v30, s[0:1] offset:16
	;; [unrolled: 1-line block ×10, first 2 shown]
	ds_read_b32 v3, v28
	v_add_nc_u32_e32 v10, v31, v30
	v_mov_b32_e32 v46, 0xbb47
	v_mov_b32_e32 v8, 0x36a6
	;; [unrolled: 1-line block ×3, first 2 shown]
	s_waitcnt lgkmcnt(0)
	v_lshrrev_b32_e32 v4, 16, v3
	s_waitcnt vmcnt(10)
	v_mul_f16_sdwa v5, v4, v2 dst_sel:DWORD dst_unused:UNUSED_PAD src0_sel:DWORD src1_sel:WORD_1
	v_mul_f16_sdwa v6, v3, v2 dst_sel:DWORD dst_unused:UNUSED_PAD src0_sel:DWORD src1_sel:WORD_1
	v_fma_f16 v3, v3, v2, -v5
	v_fmac_f16_e32 v6, v4, v2
	v_pack_b32_f16 v2, v3, v6
	ds_write_b32 v28, v2
	ds_read2_b32 v[2:3], v22 offset0:2 offset1:4
	ds_read2_b32 v[4:5], v22 offset0:6 offset1:8
	ds_read_b32 v30, v10 offset:40
	ds_read2_b32 v[6:7], v22 offset0:12 offset1:14
	ds_read2_b32 v[36:37], v22 offset0:16 offset1:18
	ds_read_b32 v47, v22 offset:80
	s_waitcnt lgkmcnt(4)
	v_lshrrev_b32_e32 v53, 16, v4
	s_waitcnt vmcnt(7)
	v_mul_f16_sdwa v54, v4, v38 dst_sel:DWORD dst_unused:UNUSED_PAD src0_sel:DWORD src1_sel:WORD_1
	v_lshrrev_b32_e32 v49, 16, v2
	v_mul_f16_sdwa v50, v2, v9 dst_sel:DWORD dst_unused:UNUSED_PAD src0_sel:DWORD src1_sel:WORD_1
	v_lshrrev_b32_e32 v51, 16, v3
	;; [unrolled: 2-line block ×3, first 2 shown]
	s_waitcnt vmcnt(6)
	v_mul_f16_sdwa v56, v5, v39 dst_sel:DWORD dst_unused:UNUSED_PAD src0_sel:DWORD src1_sel:WORD_1
	s_waitcnt lgkmcnt(3)
	v_lshrrev_b32_e32 v57, 16, v30
	s_waitcnt vmcnt(5)
	v_mul_f16_sdwa v58, v30, v40 dst_sel:DWORD dst_unused:UNUSED_PAD src0_sel:DWORD src1_sel:WORD_1
	s_waitcnt lgkmcnt(2)
	v_lshrrev_b32_e32 v59, 16, v6
	s_waitcnt vmcnt(4)
	v_mul_f16_sdwa v60, v6, v41 dst_sel:DWORD dst_unused:UNUSED_PAD src0_sel:DWORD src1_sel:WORD_1
	v_lshrrev_b32_e32 v61, 16, v7
	s_waitcnt vmcnt(3)
	v_mul_f16_sdwa v62, v7, v42 dst_sel:DWORD dst_unused:UNUSED_PAD src0_sel:DWORD src1_sel:WORD_1
	s_waitcnt lgkmcnt(1)
	v_lshrrev_b32_e32 v63, 16, v36
	s_waitcnt vmcnt(2)
	v_mul_f16_sdwa v64, v36, v43 dst_sel:DWORD dst_unused:UNUSED_PAD src0_sel:DWORD src1_sel:WORD_1
	v_lshrrev_b32_e32 v65, 16, v37
	s_waitcnt vmcnt(1)
	v_mul_f16_sdwa v66, v37, v44 dst_sel:DWORD dst_unused:UNUSED_PAD src0_sel:DWORD src1_sel:WORD_1
	s_waitcnt lgkmcnt(0)
	v_lshrrev_b32_e32 v67, 16, v47
	v_mul_f16_sdwa v69, v49, v9 dst_sel:DWORD dst_unused:UNUSED_PAD src0_sel:DWORD src1_sel:WORD_1
	v_fmac_f16_e32 v50, v49, v9
	v_mul_f16_sdwa v49, v51, v13 dst_sel:DWORD dst_unused:UNUSED_PAD src0_sel:DWORD src1_sel:WORD_1
	v_fmac_f16_e32 v52, v51, v13
	;; [unrolled: 2-line block ×6, first 2 shown]
	v_mul_f16_sdwa v59, v61, v42 dst_sel:DWORD dst_unused:UNUSED_PAD src0_sel:DWORD src1_sel:WORD_1
	s_waitcnt vmcnt(0)
	v_mul_f16_sdwa v68, v47, v45 dst_sel:DWORD dst_unused:UNUSED_PAD src0_sel:DWORD src1_sel:WORD_1
	v_fmac_f16_e32 v62, v61, v42
	v_mul_f16_sdwa v61, v63, v43 dst_sel:DWORD dst_unused:UNUSED_PAD src0_sel:DWORD src1_sel:WORD_1
	v_fmac_f16_e32 v64, v63, v43
	;; [unrolled: 2-line block ×3, first 2 shown]
	v_mul_f16_sdwa v65, v67, v45 dst_sel:DWORD dst_unused:UNUSED_PAD src0_sel:DWORD src1_sel:WORD_1
	v_fma_f16 v2, v2, v9, -v69
	v_fma_f16 v3, v3, v13, -v49
	;; [unrolled: 1-line block ×7, first 2 shown]
	v_fmac_f16_e32 v68, v67, v45
	v_fma_f16 v13, v36, v43, -v61
	v_fma_f16 v30, v37, v44, -v63
	;; [unrolled: 1-line block ×3, first 2 shown]
	v_pack_b32_f16 v2, v2, v50
	v_pack_b32_f16 v3, v3, v52
	;; [unrolled: 1-line block ×10, first 2 shown]
	ds_write2_b32 v22, v2, v3 offset0:2 offset1:4
	ds_write2_b32 v22, v4, v5 offset0:6 offset1:8
	ds_write_b32 v10, v9 offset:40
	ds_write2_b32 v22, v6, v7 offset0:12 offset1:14
	ds_write2_b32 v22, v13, v30 offset0:16 offset1:18
	ds_write_b32 v22, v36 offset:80
	s_waitcnt lgkmcnt(0)
	s_barrier
	buffer_gl0_inv
	ds_read2_b32 v[36:37], v22 offset0:2 offset1:4
	ds_read_b32 v7, v28
	ds_read_b32 v6, v22 offset:80
	ds_read2_b32 v[2:3], v22 offset0:16 offset1:18
	ds_read2_b32 v[38:39], v22 offset0:6 offset1:8
	;; [unrolled: 1-line block ×3, first 2 shown]
	ds_read_b32 v41, v10 offset:40
	v_mov_b32_e32 v9, 0xb08e
	v_mov_b32_e32 v13, 0xba0c
	;; [unrolled: 1-line block ×11, first 2 shown]
	s_waitcnt lgkmcnt(0)
	s_barrier
	buffer_gl0_inv
	v_pk_add_f16 v51, v7, v36
	v_pk_add_f16 v52, v6, v36
	v_pk_add_f16 v36, v36, v6 neg_lo:[0,1] neg_hi:[0,1]
	v_pk_add_f16 v54, v37, v3 neg_lo:[0,1] neg_hi:[0,1]
	v_pk_add_f16 v56, v38, v2 neg_lo:[0,1] neg_hi:[0,1]
	v_pk_add_f16 v58, v39, v5 neg_lo:[0,1] neg_hi:[0,1]
	v_pk_add_f16 v60, v41, v4 neg_lo:[0,1] neg_hi:[0,1]
	v_pk_add_f16 v53, v3, v37
	v_pk_add_f16 v37, v51, v37
	;; [unrolled: 1-line block ×5, first 2 shown]
	v_pk_mul_f16 v51, 0xb853, v36 op_sel_hi:[0,1]
	v_mul_f16_sdwa v46, v36, v46 dst_sel:DWORD dst_unused:UNUSED_PAD src0_sel:WORD_1 src1_sel:DWORD
	v_mul_f16_sdwa v62, v52, v8 dst_sel:DWORD dst_unused:UNUSED_PAD src0_sel:WORD_1 src1_sel:DWORD
	;; [unrolled: 1-line block ×6, first 2 shown]
	v_pk_mul_f16 v66, 0xbb47, v54 op_sel_hi:[0,1]
	v_mul_f16_sdwa v67, v54, v13 dst_sel:DWORD dst_unused:UNUSED_PAD src0_sel:WORD_1 src1_sel:DWORD
	v_mul_f16_sdwa v69, v54, v40 dst_sel:DWORD dst_unused:UNUSED_PAD src0_sel:WORD_1 src1_sel:DWORD
	v_mul_f16_sdwa v71, v54, v43 dst_sel:DWORD dst_unused:UNUSED_PAD src0_sel:WORD_1 src1_sel:DWORD
	v_pk_mul_f16 v73, 0xbbeb, v56 op_sel_hi:[0,1]
	v_mul_f16_sdwa v40, v56, v40 dst_sel:DWORD dst_unused:UNUSED_PAD src0_sel:WORD_1 src1_sel:DWORD
	v_mul_f16_sdwa v75, v56, v44 dst_sel:DWORD dst_unused:UNUSED_PAD src0_sel:WORD_1 src1_sel:DWORD
	v_mul_f16_sdwa v77, v56, v45 dst_sel:DWORD dst_unused:UNUSED_PAD src0_sel:WORD_1 src1_sel:DWORD
	;; [unrolled: 4-line block ×4, first 2 shown]
	v_pk_mul_f16 v82, 0xbbad, v52 op_sel_hi:[0,1]
	v_pk_add_f16 v37, v37, v38
	v_alignbit_b32 v61, s0, v7, 16
	v_mul_f16_sdwa v68, v53, v30 dst_sel:DWORD dst_unused:UNUSED_PAD src0_sel:WORD_1 src1_sel:DWORD
	v_mul_f16_sdwa v70, v53, v42 dst_sel:DWORD dst_unused:UNUSED_PAD src0_sel:WORD_1 src1_sel:DWORD
	;; [unrolled: 1-line block ×12, first 2 shown]
	v_pk_mul_f16 v83, 0x3abb, v53 op_sel_hi:[0,1]
	v_pk_mul_f16 v84, 0xb93d, v55 op_sel_hi:[0,1]
	;; [unrolled: 1-line block ×4, first 2 shown]
	v_pk_fma_f16 v38, 0x3abb, v52, v51 op_sel:[0,0,1] op_sel_hi:[0,1,0]
	v_pk_fma_f16 v51, 0x3abb, v52, v51 op_sel:[0,0,1] op_sel_hi:[0,1,0] neg_lo:[0,0,1] neg_hi:[0,0,1]
	v_fmamk_f16 v87, v52, 0x36a6, v46
	v_fmamk_f16 v88, v36, 0x3b47, v62
	v_fma_f16 v46, v52, 0x36a6, -v46
	v_fmac_f16_e32 v62, 0xbb47, v36
	v_fmamk_f16 v89, v52, 0xb08e, v48
	v_fmamk_f16 v90, v36, 0x3beb, v63
	v_fma_f16 v48, v52, 0xb08e, -v48
	v_fmamk_f16 v91, v52, 0xb93d, v64
	v_fmamk_f16 v92, v36, 0x3a0c, v65
	v_fma_f16 v52, v52, 0xb93d, -v64
	v_fmac_f16_e32 v65, 0xba0c, v36
	v_pk_fma_f16 v64, 0x36a6, v53, v66 op_sel:[0,0,1] op_sel_hi:[0,1,0]
	v_pk_fma_f16 v66, 0x36a6, v53, v66 op_sel:[0,0,1] op_sel_hi:[0,1,0] neg_lo:[0,0,1] neg_hi:[0,0,1]
	v_fmamk_f16 v93, v53, 0xb93d, v67
	v_fma_f16 v67, v53, 0xb93d, -v67
	v_fmamk_f16 v95, v53, 0xbbad, v69
	v_fma_f16 v69, v53, 0xbbad, -v69
	v_fmamk_f16 v97, v53, 0xb08e, v71
	v_fma_f16 v53, v53, 0xb08e, -v71
	v_pk_fma_f16 v71, 0xb08e, v55, v73 op_sel:[0,0,1] op_sel_hi:[0,1,0]
	v_pk_fma_f16 v73, 0xb08e, v55, v73 op_sel:[0,0,1] op_sel_hi:[0,1,0] neg_lo:[0,0,1] neg_hi:[0,0,1]
	v_fmamk_f16 v99, v55, 0xbbad, v40
	v_fma_f16 v40, v55, 0xbbad, -v40
	v_fmamk_f16 v101, v55, 0x36a6, v75
	v_fma_f16 v75, v55, 0x36a6, -v75
	v_fmamk_f16 v103, v55, 0x3abb, v77
	v_fma_f16 v55, v55, 0x3abb, -v77
	;; [unrolled: 8-line block ×4, first 2 shown]
	v_pk_fma_f16 v59, 0xb482, v36, v82 op_sel:[0,0,1] op_sel_hi:[0,1,0]
	v_fmac_f16_e32 v63, 0xbbeb, v36
	v_pk_add_f16 v37, v37, v39
	v_fmamk_f16 v94, v54, 0x3a0c, v68
	v_fmac_f16_e32 v68, 0xba0c, v54
	v_fmamk_f16 v96, v54, 0xb482, v70
	v_fmac_f16_e32 v70, 0x3482, v54
	;; [unrolled: 2-line block ×10, first 2 shown]
	v_pk_fma_f16 v36, 0xb482, v36, v82 op_sel:[0,0,1] op_sel_hi:[0,1,0] neg_lo:[0,1,0] neg_hi:[0,1,0]
	v_pk_fma_f16 v82, 0x3853, v54, v83 op_sel:[0,0,1] op_sel_hi:[0,1,0]
	v_pk_fma_f16 v54, 0x3853, v54, v83 op_sel:[0,0,1] op_sel_hi:[0,1,0] neg_lo:[0,1,0] neg_hi:[0,1,0]
	v_pk_fma_f16 v83, 0xba0c, v56, v84 op_sel:[0,0,1] op_sel_hi:[0,1,0]
	v_pk_fma_f16 v56, 0xba0c, v56, v84 op_sel:[0,0,1] op_sel_hi:[0,1,0] neg_lo:[0,1,0] neg_hi:[0,1,0]
	v_pk_fma_f16 v84, 0x3b47, v58, v85 op_sel:[0,0,1] op_sel_hi:[0,1,0]
	v_pk_fma_f16 v58, 0x3b47, v58, v85 op_sel:[0,0,1] op_sel_hi:[0,1,0] neg_lo:[0,1,0] neg_hi:[0,1,0]
	v_fmamk_f16 v85, v60, 0x3a0c, v30
	v_fmac_f16_e32 v30, 0xba0c, v60
	v_fmamk_f16 v115, v60, 0xbb47, v8
	v_fmac_f16_e32 v8, 0x3b47, v60
	v_pk_fma_f16 v116, 0xbbeb, v60, v86 op_sel:[0,0,1] op_sel_hi:[0,1,0]
	v_pk_fma_f16 v60, 0xbbeb, v60, v86 op_sel:[0,0,1] op_sel_hi:[0,1,0] neg_lo:[0,1,0] neg_hi:[0,1,0]
	v_bfi_b32 v39, 0xffff, v38, v51
	v_bfi_b32 v38, 0xffff, v51, v38
	;; [unrolled: 1-line block ×10, first 2 shown]
	v_add_f16_e32 v81, v7, v87
	v_add_f16_sdwa v86, v7, v88 dst_sel:DWORD dst_unused:UNUSED_PAD src0_sel:WORD_1 src1_sel:DWORD
	v_add_f16_e32 v46, v7, v46
	v_add_f16_sdwa v62, v7, v62 dst_sel:DWORD dst_unused:UNUSED_PAD src0_sel:WORD_1 src1_sel:DWORD
	;; [unrolled: 2-line block ×4, first 2 shown]
	v_pk_add_f16 v61, v61, v59
	v_alignbit_b32 v59, s0, v59, 16
	v_add_f16_e32 v48, v7, v48
	v_add_f16_sdwa v63, v7, v63 dst_sel:DWORD dst_unused:UNUSED_PAD src0_sel:WORD_1 src1_sel:DWORD
	v_add_f16_e32 v89, v7, v91
	v_add_f16_sdwa v90, v7, v92 dst_sel:DWORD dst_unused:UNUSED_PAD src0_sel:WORD_1 src1_sel:DWORD
	v_pk_add_f16 v37, v37, v41
	v_pk_add_f16 v36, v7, v36 op_sel:[1,0] op_sel_hi:[0,1]
	v_alignbit_b32 v91, s0, v82, 16
	v_add_f16_e32 v41, v93, v81
	v_add_f16_e32 v81, v94, v86
	;; [unrolled: 1-line block ×5, first 2 shown]
	v_pk_add_f16 v39, v7, v39
	v_add_f16_e32 v68, v96, v88
	v_add_f16_e32 v52, v53, v52
	;; [unrolled: 1-line block ×3, first 2 shown]
	v_pk_add_f16 v59, v7, v59
	v_add_f16_e32 v48, v69, v48
	v_add_f16_e32 v63, v70, v63
	;; [unrolled: 1-line block ×4, first 2 shown]
	v_pk_add_f16 v7, v7, v38
	v_pk_add_f16 v4, v37, v4
	v_alignbit_b32 v92, s0, v83, 16
	v_pk_add_f16 v36, v54, v36
	v_pk_add_f16 v54, v82, v61
	;; [unrolled: 1-line block ×3, first 2 shown]
	v_add_f16_e32 v38, v99, v41
	v_add_f16_e32 v39, v100, v81
	;; [unrolled: 1-line block ×8, first 2 shown]
	v_pk_add_f16 v55, v91, v59
	v_add_f16_e32 v48, v75, v48
	v_add_f16_e32 v61, v76, v63
	;; [unrolled: 1-line block ×4, first 2 shown]
	v_pk_add_f16 v7, v64, v7
	v_pk_add_f16 v4, v4, v5
	v_alignbit_b32 v117, s0, v84, 16
	v_pk_add_f16 v36, v56, v36
	v_pk_add_f16 v54, v83, v54
	;; [unrolled: 1-line block ×3, first 2 shown]
	v_add_f16_e32 v37, v105, v38
	v_add_f16_e32 v38, v106, v39
	;; [unrolled: 1-line block ×7, first 2 shown]
	v_pk_add_f16 v51, v92, v55
	v_add_f16_e32 v43, v45, v48
	v_add_f16_e32 v46, v109, v62
	;; [unrolled: 1-line block ×5, first 2 shown]
	v_pk_add_f16 v7, v71, v7
	v_pk_add_f16 v2, v4, v2
	v_alignbit_b32 v118, s0, v116, 16
	v_pk_add_f16 v36, v58, v36
	v_pk_add_f16 v52, v84, v54
	;; [unrolled: 1-line block ×3, first 2 shown]
	v_add_f16_e32 v5, v111, v37
	v_add_f16_e32 v37, v112, v38
	;; [unrolled: 1-line block ×6, first 2 shown]
	v_pk_add_f16 v42, v117, v51
	v_add_f16_e32 v13, v13, v43
	v_add_f16_e32 v41, v114, v46
	;; [unrolled: 1-line block ×6, first 2 shown]
	v_pk_add_f16 v7, v77, v7
	v_pk_add_f16 v2, v2, v3
	;; [unrolled: 1-line block ×5, first 2 shown]
	v_pack_b32_f16 v4, v39, v40
	v_pack_b32_f16 v5, v5, v37
	v_pk_add_f16 v39, v118, v42
	v_pack_b32_f16 v37, v41, v43
	v_pack_b32_f16 v30, v13, v30
	;; [unrolled: 1-line block ×3, first 2 shown]
	v_pk_add_f16 v13, v57, v7
	v_pack_b32_f16 v7, v38, v9
	v_pk_add_f16 v2, v2, v6
	v_alignbit_b32 v40, v45, v36, 16
	ds_write2_b32 v29, v5, v4 offset0:2 offset1:3
	v_pack_b32_f16 v4, v39, v36
	ds_write_b32 v29, v37 offset:16
	ds_write2_b32 v29, v8, v30 offset0:7 offset1:8
	ds_write2_b32 v29, v7, v13 offset0:9 offset1:10
	ds_write2_b32 v29, v2, v3 offset1:1
	ds_write2_b32 v29, v4, v40 offset0:5 offset1:6
	s_waitcnt lgkmcnt(0)
	s_barrier
	buffer_gl0_inv
	ds_read2_b32 v[4:5], v22 offset0:2 offset1:4
	ds_read2_b32 v[2:3], v22 offset0:6 offset1:8
	;; [unrolled: 1-line block ×4, first 2 shown]
	ds_read_b32 v30, v28
	ds_read_b32 v36, v22 offset:76
	v_lshrrev_b32_e32 v29, 16, v13
	s_and_saveexec_b32 s0, vcc_lo
	s_cbranch_execz .LBB0_7
; %bb.6:
	ds_read_b32 v13, v10 offset:40
	ds_read_b32 v11, v31 offset:84
	s_waitcnt lgkmcnt(1)
	v_lshrrev_b32_e32 v29, 16, v13
	s_waitcnt lgkmcnt(0)
	v_lshrrev_b32_e32 v12, 16, v11
.LBB0_7:
	s_or_b32 exec_lo, exec_lo, s0
	s_waitcnt lgkmcnt(3)
	v_lshrrev_b32_e32 v38, 16, v8
	v_lshrrev_b32_e32 v40, 16, v9
	s_waitcnt lgkmcnt(2)
	v_lshrrev_b32_e32 v42, 16, v6
	v_mul_f16_sdwa v48, v32, v8 dst_sel:DWORD dst_unused:UNUSED_PAD src0_sel:WORD_1 src1_sel:DWORD
	v_lshrrev_b32_e32 v45, 16, v7
	v_mul_f16_sdwa v44, v32, v38 dst_sel:DWORD dst_unused:UNUSED_PAD src0_sel:WORD_1 src1_sel:DWORD
	s_waitcnt lgkmcnt(0)
	v_lshrrev_b32_e32 v47, 16, v36
	v_mul_f16_sdwa v49, v33, v9 dst_sel:DWORD dst_unused:UNUSED_PAD src0_sel:WORD_1 src1_sel:DWORD
	v_mul_f16_sdwa v50, v35, v42 dst_sel:DWORD dst_unused:UNUSED_PAD src0_sel:WORD_1 src1_sel:DWORD
	v_lshrrev_b32_e32 v37, 16, v30
	v_fmac_f16_e32 v44, v32, v8
	v_mul_f16_sdwa v8, v33, v40 dst_sel:DWORD dst_unused:UNUSED_PAD src0_sel:WORD_1 src1_sel:DWORD
	v_fma_f16 v32, v32, v38, -v48
	v_mul_f16_sdwa v38, v35, v6 dst_sel:DWORD dst_unused:UNUSED_PAD src0_sel:WORD_1 src1_sel:DWORD
	v_fmac_f16_e32 v50, v35, v6
	v_mul_f16_sdwa v6, v15, v45 dst_sel:DWORD dst_unused:UNUSED_PAD src0_sel:WORD_1 src1_sel:DWORD
	v_fmac_f16_e32 v8, v33, v9
	v_fma_f16 v9, v33, v40, -v49
	v_fma_f16 v33, v35, v42, -v38
	v_mul_f16_sdwa v35, v15, v7 dst_sel:DWORD dst_unused:UNUSED_PAD src0_sel:WORD_1 src1_sel:DWORD
	v_mul_f16_sdwa v38, v34, v47 dst_sel:DWORD dst_unused:UNUSED_PAD src0_sel:WORD_1 src1_sel:DWORD
	;; [unrolled: 1-line block ×3, first 2 shown]
	v_lshrrev_b32_e32 v39, 16, v4
	v_lshrrev_b32_e32 v41, 16, v5
	;; [unrolled: 1-line block ×4, first 2 shown]
	v_fmac_f16_e32 v6, v15, v7
	v_sub_f16_e32 v7, v30, v44
	v_fma_f16 v15, v15, v45, -v35
	v_fmac_f16_e32 v38, v34, v36
	v_fma_f16 v34, v34, v47, -v40
	v_sub_f16_e32 v32, v37, v32
	v_sub_f16_e32 v8, v4, v8
	;; [unrolled: 1-line block ×5, first 2 shown]
	v_fma_f16 v30, v30, 2.0, -v7
	v_fma_f16 v36, v37, 2.0, -v32
	v_sub_f16_e32 v6, v2, v6
	v_sub_f16_e32 v15, v43, v15
	;; [unrolled: 1-line block ×4, first 2 shown]
	v_fma_f16 v4, v4, 2.0, -v8
	v_fma_f16 v37, v39, 2.0, -v9
	;; [unrolled: 1-line block ×4, first 2 shown]
	v_pack_b32_f16 v30, v30, v36
	v_fma_f16 v2, v2, 2.0, -v6
	v_fma_f16 v36, v43, 2.0, -v15
	;; [unrolled: 1-line block ×4, first 2 shown]
	v_pack_b32_f16 v7, v7, v32
	v_pack_b32_f16 v8, v8, v9
	;; [unrolled: 1-line block ×9, first 2 shown]
	ds_write_b32 v28, v30
	ds_write2_b32 v22, v7, v8 offset0:11 offset1:13
	ds_write2_b32 v22, v4, v5 offset0:2 offset1:4
	;; [unrolled: 1-line block ×4, first 2 shown]
	ds_write_b32 v22, v15 offset:76
	s_and_saveexec_b32 s0, vcc_lo
	s_cbranch_execz .LBB0_9
; %bb.8:
	v_mul_f16_sdwa v2, v14, v12 dst_sel:DWORD dst_unused:UNUSED_PAD src0_sel:WORD_1 src1_sel:DWORD
	v_mul_f16_sdwa v3, v14, v11 dst_sel:DWORD dst_unused:UNUSED_PAD src0_sel:WORD_1 src1_sel:DWORD
	v_fmac_f16_e32 v2, v14, v11
	v_fma_f16 v3, v14, v12, -v3
	v_sub_f16_e32 v2, v13, v2
	v_sub_f16_e32 v3, v29, v3
	v_fma_f16 v4, v13, 2.0, -v2
	v_fma_f16 v5, v29, 2.0, -v3
	v_pack_b32_f16 v2, v2, v3
	v_pack_b32_f16 v4, v4, v5
	ds_write_b32 v10, v4 offset:40
	ds_write_b32 v31, v2 offset:84
.LBB0_9:
	s_or_b32 exec_lo, exec_lo, s0
	s_waitcnt lgkmcnt(0)
	s_barrier
	buffer_gl0_inv
	ds_read_b32 v4, v28
	ds_read2_b32 v[2:3], v22 offset0:2 offset1:4
	ds_read_b32 v5, v22 offset:80
	s_mov_b32 s6, 0x745d1746
	s_mov_b32 s7, 0x3fa745d1
	v_mul_lo_u32 v29, s9, v24
	s_waitcnt lgkmcnt(2)
	v_lshrrev_b32_e32 v6, 16, v4
	v_mul_f16_sdwa v7, v25, v4 dst_sel:DWORD dst_unused:UNUSED_PAD src0_sel:WORD_1 src1_sel:DWORD
	s_waitcnt lgkmcnt(1)
	v_lshrrev_b32_e32 v8, 16, v2
	v_mul_f16_sdwa v9, v26, v2 dst_sel:DWORD dst_unused:UNUSED_PAD src0_sel:WORD_1 src1_sel:DWORD
	v_lshrrev_b32_e32 v15, 16, v3
	v_mul_f16_sdwa v11, v25, v6 dst_sel:DWORD dst_unused:UNUSED_PAD src0_sel:WORD_1 src1_sel:DWORD
	v_fma_f16 v7, v25, v6, -v7
	v_fma_f16 v9, v26, v8, -v9
	v_mul_f16_sdwa v28, v27, v15 dst_sel:DWORD dst_unused:UNUSED_PAD src0_sel:WORD_1 src1_sel:DWORD
	v_fmac_f16_e32 v11, v25, v4
	v_cvt_f32_f16_e32 v12, v7
	v_mul_f16_sdwa v4, v26, v8 dst_sel:DWORD dst_unused:UNUSED_PAD src0_sel:WORD_1 src1_sel:DWORD
	v_cvt_f32_f16_e32 v13, v9
	v_mad_u64_u32 v[6:7], null, s10, v1, 0
	v_cvt_f64_f32_e32 v[8:9], v12
	v_cvt_f32_f16_e32 v14, v11
	v_cvt_f64_f32_e32 v[11:12], v13
	v_fmac_f16_e32 v4, v26, v2
	v_fmac_f16_e32 v28, v27, v3
	v_cvt_f64_f32_e32 v[13:14], v14
	v_mov_b32_e32 v2, v7
	v_cvt_f32_f16_e32 v4, v4
	v_mad_u64_u32 v[1:2], null, s11, v1, v[2:3]
	v_cvt_f64_f32_e32 v[25:26], v4
	v_cvt_f32_f16_e32 v2, v28
	v_mul_lo_u32 v28, s8, v24
	v_mul_f16_sdwa v24, v27, v3 dst_sel:DWORD dst_unused:UNUSED_PAD src0_sel:WORD_1 src1_sel:DWORD
	v_cvt_f64_f32_e32 v[30:31], v2
	v_mov_b32_e32 v7, v1
	v_mul_f64 v[8:9], v[8:9], s[6:7]
	v_fma_f16 v15, v27, v15, -v24
	v_mul_f64 v[1:2], v[11:12], s[6:7]
	ds_read2_b32 v[11:12], v22 offset0:6 offset1:8
	v_lshlrev_b64 v[3:4], 2, v[6:7]
	v_mul_f64 v[6:7], v[13:14], s[6:7]
	v_lshlrev_b64 v[13:14], 2, v[28:29]
	v_cvt_f32_f16_e32 v15, v15
	v_add_co_u32 v24, vcc_lo, s4, v3
	v_add_co_ci_u32_e32 v27, vcc_lo, s5, v4, vcc_lo
	v_mul_f64 v[3:4], v[25:26], s[6:7]
	v_add_co_u32 v13, vcc_lo, v24, v13
	v_add_co_ci_u32_e32 v14, vcc_lo, v27, v14, vcc_lo
	v_mul_f64 v[24:25], v[30:31], s[6:7]
	v_and_or_b32 v8, 0x1ff, v9, v8
	v_lshrrev_b32_e32 v26, 8, v9
	v_and_or_b32 v1, 0x1ff, v2, v1
	v_bfe_u32 v27, v9, 20, 11
	v_bfe_u32 v29, v2, 20, 11
	v_cmp_ne_u32_e32 vcc_lo, 0, v8
	v_and_or_b32 v6, 0x1ff, v7, v6
	v_lshrrev_b32_e32 v30, 8, v7
	v_bfe_u32 v31, v7, 20, 11
	v_lshrrev_b32_e32 v28, 8, v2
	v_cndmask_b32_e64 v8, 0, 1, vcc_lo
	v_cmp_ne_u32_e32 vcc_lo, 0, v1
	v_sub_nc_u32_e32 v32, 0x3f1, v27
	v_sub_nc_u32_e32 v36, 0x3f1, v31
	v_and_or_b32 v3, 0x1ff, v4, v3
	v_lshrrev_b32_e32 v33, 8, v4
	v_cndmask_b32_e64 v1, 0, 1, vcc_lo
	v_cmp_ne_u32_e32 vcc_lo, 0, v6
	v_sub_nc_u32_e32 v35, 0x3f1, v29
	v_and_or_b32 v8, 0xffe, v26, v8
	v_add_nc_u32_e32 v27, 0xfffffc10, v27
	v_med3_i32 v26, v32, 0, 13
	v_cndmask_b32_e64 v6, 0, 1, vcc_lo
	v_cmp_ne_u32_e32 vcc_lo, 0, v3
	v_and_or_b32 v1, 0xffe, v28, v1
	v_med3_i32 v28, v35, 0, 13
	v_or_b32_e32 v35, 0x1000, v8
	v_and_or_b32 v6, 0xffe, v30, v6
	v_cndmask_b32_e64 v3, 0, 1, vcc_lo
	v_med3_i32 v30, v36, 0, 13
	v_cmp_ne_u32_e32 vcc_lo, 0, v8
	v_add_nc_u32_e32 v31, 0xfffffc10, v31
	v_or_b32_e32 v36, 0x1000, v6
	v_and_or_b32 v3, 0xffe, v33, v3
	v_lshl_or_b32 v37, v27, 12, v8
	v_cndmask_b32_e64 v8, 0, 1, vcc_lo
	v_lshrrev_b32_e32 v38, v26, v35
	v_lshrrev_b32_e32 v33, v30, v36
	v_cmp_ne_u32_e32 vcc_lo, 0, v6
	v_bfe_u32 v34, v4, 20, 11
	v_lshl_or_b32 v40, v31, 12, v6
	v_lshlrev_b32_e32 v26, v26, v38
	v_lshlrev_b32_e32 v30, v30, v33
	v_cndmask_b32_e64 v6, 0, 1, vcc_lo
	v_sub_nc_u32_e32 v32, 0x3f1, v34
	v_add_nc_u32_e32 v34, 0xfffffc10, v34
	v_or_b32_e32 v39, 0x1000, v1
	v_cmp_ne_u32_e32 vcc_lo, v30, v36
	v_lshl_or_b32 v6, v6, 9, 0x7c00
	v_med3_i32 v32, v32, 0, 13
	v_lshl_or_b32 v36, v34, 12, v3
	v_lshl_or_b32 v8, v8, 9, 0x7c00
	v_cndmask_b32_e64 v30, 0, 1, vcc_lo
	v_cmp_ne_u32_e32 vcc_lo, v26, v35
	v_or_b32_e32 v35, 0x1000, v3
	v_lshrrev_b32_e32 v7, 16, v7
	v_lshrrev_b32_e32 v9, 16, v9
	v_or_b32_e32 v30, v33, v30
	v_cndmask_b32_e64 v26, 0, 1, vcc_lo
	v_cmp_gt_i32_e32 vcc_lo, 1, v31
	v_lshrrev_b32_e32 v33, v28, v39
	v_and_or_b32 v24, 0x1ff, v25, v24
	v_lshrrev_b32_e32 v2, 16, v2
	v_or_b32_e32 v26, v38, v26
	v_lshrrev_b32_e32 v38, v32, v35
	v_cndmask_b32_e32 v30, v40, v30, vcc_lo
	v_cmp_gt_i32_e32 vcc_lo, 1, v27
	v_lshlrev_b32_e32 v28, v28, v33
	v_lshlrev_b32_e32 v32, v32, v38
	v_cndmask_b32_e32 v26, v37, v26, vcc_lo
	v_and_b32_e32 v37, 7, v30
	v_lshrrev_b32_e32 v30, 2, v30
	v_cmp_ne_u32_e32 vcc_lo, v32, v35
	v_and_b32_e32 v40, 7, v26
	v_cmp_eq_u32_e64 s0, 3, v37
	v_lshrrev_b32_e32 v26, 2, v26
	v_cndmask_b32_e64 v32, 0, 1, vcc_lo
	v_cmp_lt_i32_e32 vcc_lo, 5, v37
	v_cmp_lt_i32_e64 s1, 5, v40
	v_cmp_eq_u32_e64 s2, 3, v40
	v_or_b32_e32 v32, v38, v32
	s_or_b32 vcc_lo, s0, vcc_lo
	v_add_co_ci_u32_e32 v30, vcc_lo, 0, v30, vcc_lo
	s_or_b32 vcc_lo, s2, s1
	v_cmp_ne_u32_e64 s1, 0, v24
	v_add_co_ci_u32_e32 v26, vcc_lo, 0, v26, vcc_lo
	v_cmp_gt_i32_e32 vcc_lo, 31, v31
	v_bfe_u32 v24, v25, 20, 11
	s_lshl_b64 s[2:3], s[8:9], 3
	v_cndmask_b32_e32 v30, 0x7c00, v30, vcc_lo
	v_cmp_gt_i32_e32 vcc_lo, 31, v27
	v_cndmask_b32_e32 v26, 0x7c00, v26, vcc_lo
	v_cmp_eq_u32_e32 vcc_lo, 0x40f, v31
	v_cndmask_b32_e32 v6, v30, v6, vcc_lo
	v_cmp_gt_i32_e32 vcc_lo, 1, v34
	v_and_or_b32 v6, 0x8000, v7, v6
	v_cndmask_b32_e32 v30, v36, v32, vcc_lo
	v_cmp_eq_u32_e32 vcc_lo, 0x40f, v27
	v_add_nc_u32_e32 v27, 0xfffffc10, v29
	v_and_b32_e32 v6, 0xffff, v6
	v_cndmask_b32_e32 v8, v26, v8, vcc_lo
	v_cmp_ne_u32_e32 vcc_lo, v28, v39
	v_and_b32_e32 v26, 7, v30
	v_lshl_or_b32 v28, v27, 12, v1
	v_and_or_b32 v8, 0x8000, v9, v8
	v_cndmask_b32_e64 v7, 0, 1, vcc_lo
	v_cmp_lt_i32_e32 vcc_lo, 5, v26
	v_cmp_eq_u32_e64 s0, 3, v26
	v_lshrrev_b32_e32 v26, 2, v30
	v_lshl_or_b32 v8, v8, 16, v6
	v_or_b32_e32 v9, v33, v7
	v_cvt_f64_f32_e32 v[6:7], v15
	s_or_b32 vcc_lo, s0, vcc_lo
	v_add_co_ci_u32_e32 v15, vcc_lo, 0, v26, vcc_lo
	v_cmp_ne_u32_e32 vcc_lo, 0, v3
	ds_read_b32 v26, v10 offset:40
	global_store_dword v[13:14], v8, off
	v_cndmask_b32_e64 v3, 0, 1, vcc_lo
	v_cmp_gt_i32_e32 vcc_lo, 1, v27
	v_lshl_or_b32 v3, v3, 9, 0x7c00
	v_cndmask_b32_e32 v9, v28, v9, vcc_lo
	v_cmp_gt_i32_e32 vcc_lo, 31, v34
	s_waitcnt lgkmcnt(1)
	v_lshrrev_b32_e32 v28, 16, v11
	v_and_b32_e32 v10, 7, v9
	v_cndmask_b32_e32 v15, 0x7c00, v15, vcc_lo
	v_cmp_eq_u32_e32 vcc_lo, 0x40f, v34
	v_lshrrev_b32_e32 v9, 2, v9
	v_cmp_eq_u32_e64 s0, 3, v10
	v_cndmask_b32_e32 v8, v15, v3, vcc_lo
	v_lshrrev_b32_e32 v15, 16, v4
	v_mul_f64 v[3:4], v[6:7], s[6:7]
	v_mul_f16_sdwa v6, v23, v28 dst_sel:DWORD dst_unused:UNUSED_PAD src0_sel:WORD_1 src1_sel:DWORD
	v_cmp_lt_i32_e32 vcc_lo, 5, v10
	v_cndmask_b32_e64 v7, 0, 1, s1
	v_lshrrev_b32_e32 v10, 8, v25
	v_and_or_b32 v8, 0x8000, v15, v8
	v_fmac_f16_e32 v6, v23, v11
	s_or_b32 vcc_lo, s0, vcc_lo
	v_mul_f16_sdwa v11, v23, v11 dst_sel:DWORD dst_unused:UNUSED_PAD src0_sel:WORD_1 src1_sel:DWORD
	v_add_co_ci_u32_e32 v9, vcc_lo, 0, v9, vcc_lo
	v_and_or_b32 v10, 0xffe, v10, v7
	v_sub_nc_u32_e32 v7, 0x3f1, v24
	v_cvt_f32_f16_e32 v6, v6
	v_cmp_ne_u32_e32 vcc_lo, 0, v1
	v_add_nc_u32_e32 v24, 0xfffffc10, v24
	v_or_b32_e32 v29, 0x1000, v10
	v_med3_i32 v30, v7, 0, 13
	v_cvt_f64_f32_e32 v[6:7], v6
	v_cndmask_b32_e64 v1, 0, 1, vcc_lo
	v_cmp_gt_i32_e32 vcc_lo, 31, v27
	v_and_b32_e32 v8, 0xffff, v8
	v_lshrrev_b32_e32 v15, v30, v29
	v_and_or_b32 v3, 0x1ff, v4, v3
	v_lshl_or_b32 v1, v1, 9, 0x7c00
	v_cndmask_b32_e32 v9, 0x7c00, v9, vcc_lo
	v_cmp_eq_u32_e32 vcc_lo, 0x40f, v27
	v_lshrrev_b32_e32 v27, 8, v4
	v_lshrrev_b32_e32 v25, 16, v25
	v_cndmask_b32_e32 v1, v9, v1, vcc_lo
	v_lshlrev_b32_e32 v9, v30, v15
	v_cmp_ne_u32_e32 vcc_lo, 0, v3
	v_bfe_u32 v30, v4, 20, 11
	v_lshrrev_b32_e32 v4, 16, v4
	v_cndmask_b32_e64 v3, 0, 1, vcc_lo
	v_cmp_ne_u32_e32 vcc_lo, v9, v29
	v_and_or_b32 v29, 0x8000, v2, v1
	v_mul_f64 v[1:2], v[6:7], s[6:7]
	ds_read2_b32 v[6:7], v22 offset0:12 offset1:14
	v_and_or_b32 v3, 0xffe, v27, v3
	v_cndmask_b32_e64 v9, 0, 1, vcc_lo
	v_cmp_gt_i32_e32 vcc_lo, 1, v24
	v_sub_nc_u32_e32 v27, 0x3f1, v30
	v_lshl_or_b32 v29, v29, 16, v8
	v_or_b32_e32 v31, 0x1000, v3
	v_or_b32_e32 v9, v15, v9
	v_lshl_or_b32 v15, v24, 12, v10
	v_med3_i32 v27, v27, 0, 13
	v_fma_f16 v8, v23, v28, -v11
	v_cndmask_b32_e32 v9, v15, v9, vcc_lo
	v_lshrrev_b32_e32 v15, v27, v31
	v_cvt_f32_f16_e32 v8, v8
	v_and_b32_e32 v32, 7, v9
	v_lshrrev_b32_e32 v23, 2, v9
	v_lshlrev_b32_e32 v11, v27, v15
	v_and_or_b32 v1, 0x1ff, v2, v1
	v_cvt_f64_f32_e32 v[8:9], v8
	v_cmp_lt_i32_e32 vcc_lo, 5, v32
	v_cmp_eq_u32_e64 s0, 3, v32
	v_cmp_ne_u32_e64 s1, v11, v31
	v_add_nc_u32_e32 v27, 0xfffffc10, v30
	v_lshrrev_b32_e32 v28, 8, v2
	v_bfe_u32 v30, v2, 20, 11
	s_or_b32 vcc_lo, s0, vcc_lo
	v_cndmask_b32_e64 v11, 0, 1, s1
	v_add_co_ci_u32_e32 v23, vcc_lo, 0, v23, vcc_lo
	v_cmp_ne_u32_e32 vcc_lo, 0, v1
	v_or_b32_e32 v11, v15, v11
	v_lshl_or_b32 v15, v27, 12, v3
	v_cndmask_b32_e64 v1, 0, 1, vcc_lo
	v_cmp_ne_u32_e32 vcc_lo, 0, v10
	v_and_or_b32 v1, 0xffe, v28, v1
	v_cndmask_b32_e64 v10, 0, 1, vcc_lo
	v_cmp_gt_i32_e32 vcc_lo, 1, v27
	v_mul_f64 v[8:9], v[8:9], s[6:7]
	v_or_b32_e32 v31, 0x1000, v1
	v_lshl_or_b32 v10, v10, 9, 0x7c00
	v_cndmask_b32_e32 v15, v15, v11, vcc_lo
	v_cmp_gt_i32_e32 vcc_lo, 31, v24
	v_and_b32_e32 v28, 7, v15
	v_cndmask_b32_e32 v11, 0x7c00, v23, vcc_lo
	v_sub_nc_u32_e32 v23, 0x3f1, v30
	v_cmp_eq_u32_e32 vcc_lo, 0x40f, v24
	v_cmp_eq_u32_e64 s0, 3, v28
	v_med3_i32 v23, v23, 0, 13
	v_cndmask_b32_e32 v24, v11, v10, vcc_lo
	v_cmp_lt_i32_e32 vcc_lo, 5, v28
	v_add_co_u32 v10, s1, v13, s2
	v_lshrrev_b32_e32 v28, v23, v31
	v_lshrrev_b32_e32 v13, 2, v15
	v_add_co_ci_u32_e64 v11, s1, s3, v14, s1
	s_or_b32 vcc_lo, s0, vcc_lo
	v_lshlrev_b32_e32 v14, v23, v28
	v_add_co_ci_u32_e32 v23, vcc_lo, 0, v13, vcc_lo
	v_and_or_b32 v15, 0x8000, v25, v24
	v_lshrrev_b32_e32 v24, 16, v12
	v_cmp_ne_u32_e32 vcc_lo, v14, v31
	v_and_or_b32 v8, 0x1ff, v9, v8
	v_add_nc_u32_e32 v25, 0xfffffc10, v30
	v_lshrrev_b32_e32 v30, 8, v9
	v_mul_f16_sdwa v14, v21, v24 dst_sel:DWORD dst_unused:UNUSED_PAD src0_sel:WORD_1 src1_sel:DWORD
	v_cndmask_b32_e64 v13, 0, 1, vcc_lo
	v_cmp_ne_u32_e32 vcc_lo, 0, v3
	v_bfe_u32 v31, v9, 20, 11
	v_and_b32_e32 v15, 0xffff, v15
	v_fmac_f16_e32 v14, v21, v12
	v_or_b32_e32 v13, v28, v13
	v_cndmask_b32_e64 v3, 0, 1, vcc_lo
	v_cmp_ne_u32_e32 vcc_lo, 0, v8
	v_lshl_or_b32 v28, v25, 12, v1
	v_cvt_f32_f16_e32 v14, v14
	v_mul_f16_sdwa v12, v21, v12 dst_sel:DWORD dst_unused:UNUSED_PAD src0_sel:WORD_1 src1_sel:DWORD
	v_lshl_or_b32 v3, v3, 9, 0x7c00
	v_cndmask_b32_e64 v8, 0, 1, vcc_lo
	v_cmp_gt_i32_e32 vcc_lo, 1, v25
	global_store_dword v[10:11], v29, off
	v_lshrrev_b32_e32 v9, 16, v9
	v_and_or_b32 v8, 0xffe, v30, v8
	v_cndmask_b32_e32 v28, v28, v13, vcc_lo
	v_cvt_f64_f32_e32 v[13:14], v14
	v_cmp_gt_i32_e32 vcc_lo, 31, v27
	v_sub_nc_u32_e32 v30, 0x3f1, v31
	v_or_b32_e32 v33, 0x1000, v8
	v_and_b32_e32 v32, 7, v28
	v_cndmask_b32_e32 v23, 0x7c00, v23, vcc_lo
	v_cmp_eq_u32_e32 vcc_lo, 0x40f, v27
	v_med3_i32 v30, v30, 0, 13
	v_cmp_eq_u32_e64 s0, 3, v32
	v_cndmask_b32_e32 v3, v23, v3, vcc_lo
	v_lshrrev_b32_e32 v23, v30, v33
	v_cmp_lt_i32_e32 vcc_lo, 5, v32
	v_and_or_b32 v27, 0x8000, v4, v3
	v_lshrrev_b32_e32 v3, 2, v28
	v_fma_f16 v4, v21, v24, -v12
	v_lshlrev_b32_e32 v12, v30, v23
	s_or_b32 vcc_lo, s0, vcc_lo
	v_add_nc_u32_e32 v28, 0xfffffc10, v31
	v_add_co_ci_u32_e32 v21, vcc_lo, 0, v3, vcc_lo
	v_cvt_f32_f16_e32 v24, v4
	v_cmp_ne_u32_e32 vcc_lo, v12, v33
	v_mul_f64 v[3:4], v[13:14], s[6:7]
	v_cvt_f64_f32_e32 v[12:13], v24
	v_cndmask_b32_e64 v14, 0, 1, vcc_lo
	v_cmp_ne_u32_e32 vcc_lo, 0, v1
	v_lshl_or_b32 v24, v27, 16, v15
	v_or_b32_e32 v14, v23, v14
	v_cndmask_b32_e64 v1, 0, 1, vcc_lo
	v_cmp_gt_i32_e32 vcc_lo, 31, v25
	v_lshl_or_b32 v23, v28, 12, v8
	v_lshl_or_b32 v1, v1, 9, 0x7c00
	v_cndmask_b32_e32 v21, 0x7c00, v21, vcc_lo
	v_cmp_gt_i32_e32 vcc_lo, 1, v28
	v_cndmask_b32_e32 v14, v23, v14, vcc_lo
	v_cmp_eq_u32_e32 vcc_lo, 0x40f, v25
	v_and_or_b32 v3, 0x1ff, v4, v3
	v_lshrrev_b32_e32 v23, 16, v2
	v_mul_f64 v[12:13], v[12:13], s[6:7]
	v_lshrrev_b32_e32 v15, 8, v4
	v_cndmask_b32_e32 v21, v21, v1, vcc_lo
	ds_read2_b32 v[1:2], v22 offset0:16 offset1:18
	v_and_b32_e32 v22, 7, v14
	v_cmp_ne_u32_e64 s1, 0, v3
	v_lshrrev_b32_e32 v14, 2, v14
	v_and_or_b32 v21, 0x8000, v23, v21
	s_waitcnt lgkmcnt(2)
	v_lshrrev_b32_e32 v23, 16, v26
	v_cmp_lt_i32_e32 vcc_lo, 5, v22
	v_cmp_eq_u32_e64 s0, 3, v22
	v_cndmask_b32_e64 v3, 0, 1, s1
	v_bfe_u32 v22, v4, 20, 11
	v_mul_f16_sdwa v27, v20, v23 dst_sel:DWORD dst_unused:UNUSED_PAD src0_sel:WORD_1 src1_sel:DWORD
	v_and_b32_e32 v21, 0xffff, v21
	s_or_b32 vcc_lo, s0, vcc_lo
	v_and_or_b32 v3, 0xffe, v15, v3
	v_add_co_ci_u32_e32 v14, vcc_lo, 0, v14, vcc_lo
	v_sub_nc_u32_e32 v15, 0x3f1, v22
	v_cmp_ne_u32_e32 vcc_lo, 0, v8
	v_or_b32_e32 v25, 0x1000, v3
	v_and_or_b32 v12, 0x1ff, v13, v12
	v_fmac_f16_e32 v27, v20, v26
	v_med3_i32 v15, v15, 0, 13
	v_cndmask_b32_e64 v8, 0, 1, vcc_lo
	v_cmp_gt_i32_e32 vcc_lo, 31, v28
	v_bfe_u32 v30, v13, 20, 11
	v_add_nc_u32_e32 v22, 0xfffffc10, v22
	v_lshrrev_b32_e32 v29, v15, v25
	v_lshl_or_b32 v8, v8, 9, 0x7c00
	v_cndmask_b32_e32 v14, 0x7c00, v14, vcc_lo
	v_cmp_eq_u32_e32 vcc_lo, 0x40f, v28
	v_mul_f16_sdwa v26, v20, v26 dst_sel:DWORD dst_unused:UNUSED_PAD src0_sel:WORD_1 src1_sel:DWORD
	v_lshlrev_b32_e32 v28, v15, v29
	v_cndmask_b32_e32 v8, v14, v8, vcc_lo
	v_cmp_ne_u32_e32 vcc_lo, 0, v12
	v_cvt_f32_f16_e32 v14, v27
	v_lshrrev_b32_e32 v27, 8, v13
	v_fma_f16 v20, v20, v23, -v26
	v_and_or_b32 v31, 0x8000, v9, v8
	v_cndmask_b32_e64 v12, 0, 1, vcc_lo
	v_cmp_ne_u32_e32 vcc_lo, v28, v25
	v_cvt_f64_f32_e32 v[14:15], v14
	v_lshl_or_b32 v28, v22, 12, v3
	v_lshl_or_b32 v31, v31, 16, v21
	v_and_or_b32 v12, 0xffe, v27, v12
	v_cndmask_b32_e64 v25, 0, 1, vcc_lo
	v_sub_nc_u32_e32 v27, 0x3f1, v30
	v_cmp_gt_i32_e32 vcc_lo, 1, v22
	v_cvt_f32_f16_e32 v20, v20
	v_add_nc_u32_e32 v26, 0xfffffc10, v30
	v_or_b32_e32 v25, v29, v25
	v_or_b32_e32 v29, 0x1000, v12
	v_med3_i32 v27, v27, 0, 13
	v_cndmask_b32_e32 v25, v28, v25, vcc_lo
	v_add_co_u32 v8, vcc_lo, v10, s2
	v_lshrrev_b32_e32 v28, v27, v29
	v_add_co_ci_u32_e32 v9, vcc_lo, s3, v11, vcc_lo
	v_and_b32_e32 v21, 7, v25
	v_lshrrev_b32_e32 v25, 2, v25
	v_lshlrev_b32_e32 v27, v27, v28
	v_mul_f64 v[10:11], v[14:15], s[6:7]
	v_add_co_u32 v14, vcc_lo, v8, s2
	v_add_co_ci_u32_e32 v15, vcc_lo, s3, v9, vcc_lo
	v_cmp_ne_u32_e64 s0, v27, v29
	v_cmp_lt_i32_e32 vcc_lo, 5, v21
	v_lshl_or_b32 v27, v26, 12, v12
	global_store_dword v[8:9], v24, off
	global_store_dword v[14:15], v31, off
	v_cndmask_b32_e64 v23, 0, 1, s0
	v_cmp_eq_u32_e64 s0, 3, v21
	v_cvt_f64_f32_e32 v[20:21], v20
	v_or_b32_e32 v23, v28, v23
	s_or_b32 vcc_lo, s0, vcc_lo
	v_add_co_ci_u32_e32 v25, vcc_lo, 0, v25, vcc_lo
	v_cmp_ne_u32_e32 vcc_lo, 0, v3
	v_and_or_b32 v10, 0x1ff, v11, v10
	v_lshrrev_b32_e32 v28, 8, v11
	v_bfe_u32 v29, v11, 20, 11
	v_cndmask_b32_e64 v3, 0, 1, vcc_lo
	v_cmp_gt_i32_e32 vcc_lo, 1, v26
	v_lshrrev_b32_e32 v11, 16, v11
	v_lshl_or_b32 v3, v3, 9, 0x7c00
	v_cndmask_b32_e32 v23, v27, v23, vcc_lo
	v_cmp_gt_i32_e32 vcc_lo, 31, v22
	v_and_b32_e32 v27, 7, v23
	v_cndmask_b32_e32 v25, 0x7c00, v25, vcc_lo
	v_cmp_ne_u32_e32 vcc_lo, 0, v10
	v_cmp_eq_u32_e64 s0, 3, v27
	v_cndmask_b32_e64 v10, 0, 1, vcc_lo
	v_cmp_eq_u32_e32 vcc_lo, 0x40f, v22
	v_and_or_b32 v10, 0xffe, v28, v10
	v_cndmask_b32_e32 v22, v25, v3, vcc_lo
	v_cmp_lt_i32_e32 vcc_lo, 5, v27
	v_lshrrev_b32_e32 v25, 16, v4
	v_mul_f64 v[3:4], v[20:21], s[6:7]
	v_lshrrev_b32_e32 v21, 2, v23
	v_sub_nc_u32_e32 v28, 0x3f1, v29
	s_or_b32 vcc_lo, s0, vcc_lo
	v_or_b32_e32 v23, 0x1000, v10
	s_waitcnt lgkmcnt(1)
	v_lshrrev_b32_e32 v20, 16, v6
	v_add_co_ci_u32_e32 v21, vcc_lo, 0, v21, vcc_lo
	v_med3_i32 v27, v28, 0, 13
	v_cmp_ne_u32_e32 vcc_lo, 0, v12
	v_mul_f16_sdwa v28, v19, v20 dst_sel:DWORD dst_unused:UNUSED_PAD src0_sel:WORD_1 src1_sel:DWORD
	v_and_or_b32 v22, 0x8000, v25, v22
	v_lshrrev_b32_e32 v30, v27, v23
	v_cndmask_b32_e64 v12, 0, 1, vcc_lo
	v_cmp_gt_i32_e32 vcc_lo, 31, v26
	v_fmac_f16_e32 v28, v19, v6
	v_and_b32_e32 v22, 0xffff, v22
	v_lshlrev_b32_e32 v25, v27, v30
	v_lshl_or_b32 v12, v12, 9, 0x7c00
	v_cndmask_b32_e32 v21, 0x7c00, v21, vcc_lo
	v_cmp_eq_u32_e32 vcc_lo, 0x40f, v26
	v_and_or_b32 v3, 0x1ff, v4, v3
	v_cvt_f32_f16_e32 v27, v28
	v_lshrrev_b32_e32 v26, 16, v13
	v_bfe_u32 v28, v4, 20, 11
	v_cndmask_b32_e32 v21, v21, v12, vcc_lo
	v_cmp_ne_u32_e32 vcc_lo, v25, v23
	v_cvt_f64_f32_e32 v[12:13], v27
	v_add_nc_u32_e32 v25, 0xfffffc10, v29
	v_lshrrev_b32_e32 v27, 8, v4
	v_and_or_b32 v21, 0x8000, v26, v21
	v_cndmask_b32_e64 v23, 0, 1, vcc_lo
	v_cmp_ne_u32_e32 vcc_lo, 0, v3
	v_lshl_or_b32 v26, v25, 12, v10
	v_mul_f16_sdwa v6, v19, v6 dst_sel:DWORD dst_unused:UNUSED_PAD src0_sel:WORD_1 src1_sel:DWORD
	v_lshl_or_b32 v21, v21, 16, v22
	v_or_b32_e32 v23, v30, v23
	v_cndmask_b32_e64 v3, 0, 1, vcc_lo
	v_cmp_gt_i32_e32 vcc_lo, 1, v25
	v_fma_f16 v6, v19, v20, -v6
	v_add_nc_u32_e32 v19, 0xfffffc10, v28
	v_and_or_b32 v3, 0xffe, v27, v3
	v_sub_nc_u32_e32 v27, 0x3f1, v28
	v_cndmask_b32_e32 v23, v26, v23, vcc_lo
	v_cvt_f32_f16_e32 v6, v6
	v_or_b32_e32 v26, 0x1000, v3
	v_med3_i32 v27, v27, 0, 13
	v_and_b32_e32 v22, 7, v23
	v_mul_f64 v[8:9], v[12:13], s[6:7]
	v_add_co_u32 v12, vcc_lo, v14, s2
	v_lshrrev_b32_e32 v24, v27, v26
	v_add_co_ci_u32_e32 v13, vcc_lo, s3, v15, vcc_lo
	v_cmp_lt_i32_e32 vcc_lo, 5, v22
	v_cmp_eq_u32_e64 s0, 3, v22
	v_lshlrev_b32_e32 v14, v27, v24
	v_lshrrev_b32_e32 v15, 2, v23
	v_lshl_or_b32 v23, v19, 12, v3
	global_store_dword v[12:13], v21, off
	s_or_b32 vcc_lo, s0, vcc_lo
	v_cmp_ne_u32_e64 s1, v14, v26
	v_add_co_ci_u32_e32 v20, vcc_lo, 0, v15, vcc_lo
	v_cmp_ne_u32_e32 vcc_lo, 0, v10
	v_cndmask_b32_e64 v14, 0, 1, s1
	v_cndmask_b32_e64 v10, 0, 1, vcc_lo
	v_cmp_gt_i32_e32 vcc_lo, 1, v19
	v_or_b32_e32 v22, v24, v14
	v_cvt_f64_f32_e32 v[14:15], v6
	v_and_or_b32 v8, 0x1ff, v9, v8
	v_lshl_or_b32 v10, v10, 9, 0x7c00
	v_bfe_u32 v24, v9, 20, 11
	v_cndmask_b32_e32 v6, v23, v22, vcc_lo
	v_cmp_gt_i32_e32 vcc_lo, 31, v25
	v_lshrrev_b32_e32 v23, 8, v9
	v_lshrrev_b32_e32 v9, 16, v9
	v_and_b32_e32 v22, 7, v6
	v_cndmask_b32_e32 v20, 0x7c00, v20, vcc_lo
	v_cmp_ne_u32_e32 vcc_lo, 0, v8
	v_lshrrev_b32_e32 v6, 2, v6
	v_cmp_eq_u32_e64 s0, 3, v22
	v_cndmask_b32_e64 v8, 0, 1, vcc_lo
	v_cmp_eq_u32_e32 vcc_lo, 0x40f, v25
	v_and_or_b32 v8, 0xffe, v23, v8
	v_cndmask_b32_e32 v10, v20, v10, vcc_lo
	v_cmp_lt_i32_e32 vcc_lo, 5, v22
	v_mul_f64 v[14:15], v[14:15], s[6:7]
	v_sub_nc_u32_e32 v20, 0x3f1, v24
	v_or_b32_e32 v23, 0x1000, v8
	v_lshrrev_b32_e32 v22, 16, v7
	s_or_b32 vcc_lo, s0, vcc_lo
	v_and_or_b32 v10, 0x8000, v11, v10
	v_add_co_ci_u32_e32 v6, vcc_lo, 0, v6, vcc_lo
	v_med3_i32 v20, v20, 0, 13
	v_cmp_ne_u32_e32 vcc_lo, 0, v3
	v_mul_f16_sdwa v25, v18, v22 dst_sel:DWORD dst_unused:UNUSED_PAD src0_sel:WORD_1 src1_sel:DWORD
	v_and_b32_e32 v10, 0xffff, v10
	v_lshrrev_b32_e32 v26, v20, v23
	v_cndmask_b32_e64 v3, 0, 1, vcc_lo
	v_cmp_gt_i32_e32 vcc_lo, 31, v19
	v_fmac_f16_e32 v25, v18, v7
	v_mul_f16_sdwa v7, v18, v7 dst_sel:DWORD dst_unused:UNUSED_PAD src0_sel:WORD_1 src1_sel:DWORD
	v_lshlrev_b32_e32 v20, v20, v26
	v_lshl_or_b32 v3, v3, 9, 0x7c00
	v_cndmask_b32_e32 v6, 0x7c00, v6, vcc_lo
	v_cmp_eq_u32_e32 vcc_lo, 0x40f, v19
	v_and_or_b32 v14, 0x1ff, v15, v14
	v_cvt_f32_f16_e32 v25, v25
	v_lshrrev_b32_e32 v19, 16, v4
	v_fma_f16 v7, v18, v22, -v7
	v_cndmask_b32_e32 v6, v6, v3, vcc_lo
	v_cmp_ne_u32_e32 vcc_lo, v20, v23
	v_add_nc_u32_e32 v23, 0xfffffc10, v24
	v_cvt_f64_f32_e32 v[3:4], v25
	v_bfe_u32 v24, v15, 20, 11
	v_and_or_b32 v6, 0x8000, v19, v6
	v_cndmask_b32_e64 v20, 0, 1, vcc_lo
	v_cmp_ne_u32_e32 vcc_lo, 0, v14
	v_lshl_or_b32 v19, v23, 12, v8
	v_lshl_or_b32 v6, v6, 16, v10
	v_or_b32_e32 v11, v26, v20
	v_cndmask_b32_e64 v14, 0, 1, vcc_lo
	v_lshrrev_b32_e32 v20, 8, v15
	v_cmp_gt_i32_e32 vcc_lo, 1, v23
	v_lshrrev_b32_e32 v15, 16, v15
	v_and_or_b32 v14, 0xffe, v20, v14
	v_cndmask_b32_e32 v19, v19, v11, vcc_lo
	v_sub_nc_u32_e32 v11, 0x3f1, v24
	v_add_co_u32 v10, vcc_lo, v12, s2
	v_or_b32_e32 v21, 0x1000, v14
	v_and_b32_e32 v20, 7, v19
	v_med3_i32 v25, v11, 0, 13
	v_add_co_ci_u32_e32 v11, vcc_lo, s3, v13, vcc_lo
	v_mul_f64 v[3:4], v[3:4], s[6:7]
	v_cmp_lt_i32_e32 vcc_lo, 5, v20
	v_lshrrev_b32_e32 v12, v25, v21
	v_cmp_eq_u32_e64 s0, 3, v20
	global_store_dword v[10:11], v6, off
	v_lshrrev_b32_e32 v6, 2, v19
	v_add_nc_u32_e32 v19, 0xfffffc10, v24
	v_lshlrev_b32_e32 v13, v25, v12
	s_or_b32 vcc_lo, s0, vcc_lo
	v_add_co_u32 v10, s1, v10, s2
	v_add_co_ci_u32_e32 v18, vcc_lo, 0, v6, vcc_lo
	v_cmp_ne_u32_e32 vcc_lo, v13, v21
	v_cvt_f32_f16_e32 v6, v7
	s_waitcnt lgkmcnt(0)
	v_lshrrev_b32_e32 v21, 16, v1
	v_add_co_ci_u32_e64 v11, s1, s3, v11, s1
	v_cndmask_b32_e64 v13, 0, 1, vcc_lo
	v_cmp_ne_u32_e32 vcc_lo, 0, v8
	v_cvt_f64_f32_e32 v[6:7], v6
	v_and_or_b32 v3, 0x1ff, v4, v3
	v_or_b32_e32 v12, v12, v13
	v_cndmask_b32_e64 v8, 0, 1, vcc_lo
	v_cmp_gt_i32_e32 vcc_lo, 31, v23
	v_lshl_or_b32 v13, v19, 12, v14
	v_bfe_u32 v20, v4, 20, 11
	v_lshl_or_b32 v8, v8, 9, 0x7c00
	v_cndmask_b32_e32 v18, 0x7c00, v18, vcc_lo
	v_cmp_gt_i32_e32 vcc_lo, 1, v19
	v_cndmask_b32_e32 v12, v13, v12, vcc_lo
	v_cmp_ne_u32_e32 vcc_lo, 0, v3
	v_lshrrev_b32_e32 v13, 8, v4
	v_lshrrev_b32_e32 v4, 16, v4
	v_cndmask_b32_e64 v3, 0, 1, vcc_lo
	v_cmp_eq_u32_e32 vcc_lo, 0x40f, v23
	v_mul_f64 v[6:7], v[6:7], s[6:7]
	v_mul_f16_sdwa v23, v17, v21 dst_sel:DWORD dst_unused:UNUSED_PAD src0_sel:WORD_1 src1_sel:DWORD
	v_and_or_b32 v3, 0xffe, v13, v3
	v_cndmask_b32_e32 v8, v18, v8, vcc_lo
	v_and_b32_e32 v18, 7, v12
	v_sub_nc_u32_e32 v13, 0x3f1, v20
	v_fmac_f16_e32 v23, v17, v1
	v_or_b32_e32 v22, 0x1000, v3
	v_mul_f16_sdwa v1, v17, v1 dst_sel:DWORD dst_unused:UNUSED_PAD src0_sel:WORD_1 src1_sel:DWORD
	v_cmp_lt_i32_e32 vcc_lo, 5, v18
	v_cmp_eq_u32_e64 s0, 3, v18
	v_and_or_b32 v18, 0x8000, v9, v8
	v_lshrrev_b32_e32 v8, 2, v12
	v_med3_i32 v13, v13, 0, 13
	v_fma_f16 v1, v17, v21, -v1
	s_or_b32 vcc_lo, s0, vcc_lo
	v_and_b32_e32 v18, 0xffff, v18
	v_add_co_ci_u32_e32 v8, vcc_lo, 0, v8, vcc_lo
	v_lshrrev_b32_e32 v12, v13, v22
	v_cmp_ne_u32_e32 vcc_lo, 0, v14
	v_cvt_f32_f16_e32 v14, v23
	v_and_or_b32 v6, 0x1ff, v7, v6
	v_cvt_f32_f16_e32 v1, v1
	v_lshlrev_b32_e32 v13, v13, v12
	v_cndmask_b32_e64 v9, 0, 1, vcc_lo
	v_cmp_gt_i32_e32 vcc_lo, 31, v19
	v_lshl_or_b32 v24, v9, 9, 0x7c00
	v_cndmask_b32_e32 v23, 0x7c00, v8, vcc_lo
	v_cmp_ne_u32_e32 vcc_lo, v13, v22
	v_cvt_f64_f32_e32 v[8:9], v14
	v_add_nc_u32_e32 v14, 0xfffffc10, v20
	v_lshrrev_b32_e32 v20, 8, v7
	v_bfe_u32 v22, v7, 20, 11
	v_cndmask_b32_e64 v13, 0, 1, vcc_lo
	v_cmp_eq_u32_e32 vcc_lo, 0x40f, v19
	v_lshrrev_b32_e32 v7, 16, v7
	v_or_b32_e32 v12, v12, v13
	v_cndmask_b32_e32 v19, v23, v24, vcc_lo
	v_cmp_ne_u32_e32 vcc_lo, 0, v6
	v_lshl_or_b32 v13, v14, 12, v3
	v_cndmask_b32_e64 v6, 0, 1, vcc_lo
	v_cmp_gt_i32_e32 vcc_lo, 1, v14
	v_and_or_b32 v6, 0xffe, v20, v6
	v_cndmask_b32_e32 v12, v13, v12, vcc_lo
	v_and_or_b32 v13, 0x8000, v15, v19
	v_sub_nc_u32_e32 v15, 0x3f1, v22
	v_mul_f64 v[8:9], v[8:9], s[6:7]
	v_or_b32_e32 v20, 0x1000, v6
	v_and_b32_e32 v19, 7, v12
	v_lshrrev_b32_e32 v12, 2, v12
	v_med3_i32 v15, v15, 0, 13
	v_lshl_or_b32 v18, v13, 16, v18
	v_cmp_lt_i32_e32 vcc_lo, 5, v19
	v_cmp_eq_u32_e64 s0, 3, v19
	v_lshrrev_b32_e32 v19, v15, v20
	s_or_b32 vcc_lo, s0, vcc_lo
	v_lshlrev_b32_e32 v13, v15, v19
	v_add_co_ci_u32_e32 v15, vcc_lo, 0, v12, vcc_lo
	v_cmp_ne_u32_e32 vcc_lo, v13, v20
	v_cvt_f64_f32_e32 v[12:13], v1
	v_add_nc_u32_e32 v1, 0xfffffc10, v22
	v_and_or_b32 v8, 0x1ff, v9, v8
	v_lshrrev_b32_e32 v20, 8, v9
	v_cndmask_b32_e64 v17, 0, 1, vcc_lo
	v_cmp_gt_i32_e32 vcc_lo, 31, v14
	v_bfe_u32 v21, v9, 20, 11
	v_lshrrev_b32_e32 v9, 16, v9
	v_or_b32_e32 v17, v19, v17
	v_cndmask_b32_e32 v15, 0x7c00, v15, vcc_lo
	v_cmp_ne_u32_e32 vcc_lo, 0, v8
	v_lshl_or_b32 v19, v1, 12, v6
	v_cndmask_b32_e64 v8, 0, 1, vcc_lo
	v_cmp_ne_u32_e32 vcc_lo, 0, v3
	v_and_or_b32 v8, 0xffe, v20, v8
	v_cndmask_b32_e64 v3, 0, 1, vcc_lo
	v_cmp_gt_i32_e32 vcc_lo, 1, v1
	v_lshrrev_b32_e32 v20, 16, v2
	v_mul_f64 v[12:13], v[12:13], s[6:7]
	v_or_b32_e32 v23, 0x1000, v8
	v_lshl_or_b32 v3, v3, 9, 0x7c00
	v_cndmask_b32_e32 v17, v19, v17, vcc_lo
	v_sub_nc_u32_e32 v19, 0x3f1, v21
	v_cmp_eq_u32_e32 vcc_lo, 0x40f, v14
	v_mul_f16_sdwa v24, v16, v20 dst_sel:DWORD dst_unused:UNUSED_PAD src0_sel:WORD_1 src1_sel:DWORD
	v_add_nc_u32_e32 v21, 0xfffffc10, v21
	v_and_b32_e32 v22, 7, v17
	v_med3_i32 v19, v19, 0, 13
	v_cndmask_b32_e32 v3, v15, v3, vcc_lo
	v_fmac_f16_e32 v24, v16, v2
	v_mul_f16_sdwa v2, v16, v2 dst_sel:DWORD dst_unused:UNUSED_PAD src0_sel:WORD_1 src1_sel:DWORD
	v_cmp_lt_i32_e32 vcc_lo, 5, v22
	v_lshrrev_b32_e32 v14, v19, v23
	v_cmp_eq_u32_e64 s0, 3, v22
	v_and_or_b32 v15, 0x8000, v4, v3
	v_lshrrev_b32_e32 v3, 2, v17
	v_cvt_f32_f16_e32 v17, v24
	v_lshlrev_b32_e32 v4, v19, v14
	s_or_b32 vcc_lo, s0, vcc_lo
	v_fma_f16 v2, v16, v20, -v2
	v_add_co_ci_u32_e32 v19, vcc_lo, 0, v3, vcc_lo
	v_cmp_ne_u32_e32 vcc_lo, v4, v23
	v_cvt_f64_f32_e32 v[3:4], v17
	v_lshl_or_b32 v17, v21, 12, v8
	v_and_or_b32 v12, 0x1ff, v13, v12
	v_cndmask_b32_e64 v22, 0, 1, vcc_lo
	v_cmp_ne_u32_e32 vcc_lo, 0, v6
	v_or_b32_e32 v14, v14, v22
	v_cndmask_b32_e64 v6, 0, 1, vcc_lo
	v_cmp_gt_i32_e32 vcc_lo, 31, v1
	v_bfe_u32 v22, v13, 20, 11
	v_lshl_or_b32 v6, v6, 9, 0x7c00
	v_cndmask_b32_e32 v19, 0x7c00, v19, vcc_lo
	v_cmp_gt_i32_e32 vcc_lo, 1, v21
	v_cndmask_b32_e32 v14, v17, v14, vcc_lo
	v_cmp_ne_u32_e32 vcc_lo, 0, v12
	v_lshrrev_b32_e32 v17, 8, v13
	v_mul_f64 v[3:4], v[3:4], s[6:7]
	v_lshrrev_b32_e32 v13, 16, v13
	v_and_b32_e32 v23, 7, v14
	v_cndmask_b32_e64 v12, 0, 1, vcc_lo
	v_cmp_eq_u32_e32 vcc_lo, 0x40f, v1
	v_cmp_eq_u32_e64 s0, 3, v23
	v_and_or_b32 v12, 0xffe, v17, v12
	v_cndmask_b32_e32 v1, v19, v6, vcc_lo
	v_sub_nc_u32_e32 v6, 0x3f1, v22
	v_cmp_lt_i32_e32 vcc_lo, 5, v23
	v_or_b32_e32 v17, 0x1000, v12
	v_and_or_b32 v1, 0x8000, v7, v1
	v_lshrrev_b32_e32 v7, 2, v14
	v_med3_i32 v6, v6, 0, 13
	s_or_b32 vcc_lo, s0, vcc_lo
	v_and_b32_e32 v14, 0xffff, v15
	v_add_co_ci_u32_e32 v7, vcc_lo, 0, v7, vcc_lo
	v_lshrrev_b32_e32 v15, v6, v17
	v_cmp_ne_u32_e32 vcc_lo, 0, v8
	v_lshl_or_b32 v14, v1, 16, v14
	v_and_or_b32 v3, 0x1ff, v4, v3
	v_bfe_u32 v16, v4, 20, 11
	v_lshlrev_b32_e32 v1, v6, v15
	v_cndmask_b32_e64 v8, 0, 1, vcc_lo
	v_cmp_gt_i32_e32 vcc_lo, 31, v21
	v_cndmask_b32_e32 v6, 0x7c00, v7, vcc_lo
	v_cmp_ne_u32_e32 vcc_lo, v1, v17
	v_lshl_or_b32 v7, v8, 9, 0x7c00
	v_add_nc_u32_e32 v17, 0xfffffc10, v22
	v_cndmask_b32_e64 v1, 0, 1, vcc_lo
	v_cmp_eq_u32_e32 vcc_lo, 0x40f, v21
	v_cndmask_b32_e32 v8, v6, v7, vcc_lo
	v_cmp_ne_u32_e32 vcc_lo, 0, v3
	v_or_b32_e32 v6, v15, v1
	v_lshl_or_b32 v7, v17, 12, v12
	v_lshrrev_b32_e32 v15, 8, v4
	v_cvt_f32_f16_e32 v1, v2
	v_cndmask_b32_e64 v3, 0, 1, vcc_lo
	v_cmp_gt_i32_e32 vcc_lo, 1, v17
	v_and_or_b32 v24, 0x8000, v9, v8
	v_lshrrev_b32_e32 v4, 16, v4
	v_cvt_f64_f32_e32 v[1:2], v1
	v_and_or_b32 v3, 0xffe, v15, v3
	v_cndmask_b32_e32 v19, v7, v6, vcc_lo
	v_sub_nc_u32_e32 v6, 0x3f1, v16
	v_lshrrev_b32_e32 v15, 16, v5
	v_add_nc_u32_e32 v16, 0xfffffc10, v16
	v_or_b32_e32 v21, 0x1000, v3
	v_and_b32_e32 v20, 7, v19
	v_med3_i32 v22, v6, 0, 13
	v_add_co_u32 v6, vcc_lo, v10, s2
	v_mul_f16_sdwa v23, v0, v15 dst_sel:DWORD dst_unused:UNUSED_PAD src0_sel:WORD_1 src1_sel:DWORD
	v_add_co_ci_u32_e32 v7, vcc_lo, s3, v11, vcc_lo
	v_lshrrev_b32_e32 v25, v22, v21
	v_cmp_lt_i32_e32 vcc_lo, 5, v20
	v_cmp_eq_u32_e64 s0, 3, v20
	v_lshrrev_b32_e32 v8, 2, v19
	v_fmac_f16_e32 v23, v0, v5
	v_lshlrev_b32_e32 v19, v22, v25
	v_mul_f16_sdwa v5, v0, v5 dst_sel:DWORD dst_unused:UNUSED_PAD src0_sel:WORD_1 src1_sel:DWORD
	s_or_b32 vcc_lo, s0, vcc_lo
	v_mul_f64 v[1:2], v[1:2], s[6:7]
	v_add_co_ci_u32_e32 v20, vcc_lo, 0, v8, vcc_lo
	v_cmp_ne_u32_e32 vcc_lo, v19, v21
	v_cvt_f32_f16_e32 v9, v23
	v_lshl_or_b32 v21, v16, 12, v3
	v_fma_f16 v0, v0, v15, -v5
	v_cndmask_b32_e64 v19, 0, 1, vcc_lo
	v_cmp_ne_u32_e32 vcc_lo, 0, v12
	v_cvt_f64_f32_e32 v[8:9], v9
	v_cvt_f32_f16_e32 v0, v0
	v_or_b32_e32 v19, v25, v19
	v_cndmask_b32_e64 v12, 0, 1, vcc_lo
	v_cmp_gt_i32_e32 vcc_lo, 31, v17
	v_lshl_or_b32 v12, v12, 9, 0x7c00
	v_cndmask_b32_e32 v5, 0x7c00, v20, vcc_lo
	v_cmp_gt_i32_e32 vcc_lo, 1, v16
	v_bfe_u32 v20, v2, 20, 11
	v_cndmask_b32_e32 v15, v21, v19, vcc_lo
	v_cmp_eq_u32_e32 vcc_lo, 0x40f, v17
	v_lshrrev_b32_e32 v19, 8, v2
	v_and_b32_e32 v17, 7, v15
	v_cndmask_b32_e32 v5, v5, v12, vcc_lo
	v_and_or_b32 v12, 0x1ff, v2, v1
	v_mul_f64 v[8:9], v[8:9], s[6:7]
	v_cvt_f64_f32_e32 v[0:1], v0
	v_cmp_eq_u32_e64 s0, 3, v17
	v_and_or_b32 v5, 0x8000, v13, v5
	v_cmp_ne_u32_e32 vcc_lo, 0, v12
	v_and_b32_e32 v13, 0xffff, v24
	v_lshrrev_b32_e32 v2, 16, v2
	v_cndmask_b32_e64 v12, 0, 1, vcc_lo
	v_cmp_lt_i32_e32 vcc_lo, 5, v17
	v_lshl_or_b32 v13, v5, 16, v13
	v_lshrrev_b32_e32 v5, 2, v15
	v_and_or_b32 v12, 0xffe, v19, v12
	v_sub_nc_u32_e32 v19, 0x3f1, v20
	s_or_b32 vcc_lo, s0, vcc_lo
	v_add_co_ci_u32_e32 v5, vcc_lo, 0, v5, vcc_lo
	v_or_b32_e32 v15, 0x1000, v12
	v_med3_i32 v17, v19, 0, 13
	v_cmp_ne_u32_e32 vcc_lo, 0, v3
	v_and_or_b32 v8, 0x1ff, v9, v8
	v_mul_f64 v[0:1], v[0:1], s[6:7]
	v_lshrrev_b32_e32 v21, 8, v9
	v_lshrrev_b32_e32 v19, v17, v15
	v_cndmask_b32_e64 v3, 0, 1, vcc_lo
	v_cmp_gt_i32_e32 vcc_lo, 31, v16
	v_bfe_u32 v22, v9, 20, 11
	v_lshrrev_b32_e32 v9, 16, v9
	v_lshlrev_b32_e32 v17, v17, v19
	v_lshl_or_b32 v3, v3, 9, 0x7c00
	v_cndmask_b32_e32 v5, 0x7c00, v5, vcc_lo
	v_cmp_ne_u32_e32 vcc_lo, 0, v8
	v_cndmask_b32_e64 v8, 0, 1, vcc_lo
	v_cmp_ne_u32_e32 vcc_lo, v17, v15
	v_add_nc_u32_e32 v17, 0xfffffc10, v20
	v_sub_nc_u32_e32 v20, 0x3f1, v22
	v_and_or_b32 v8, 0xffe, v21, v8
	v_cndmask_b32_e64 v15, 0, 1, vcc_lo
	v_cmp_eq_u32_e32 vcc_lo, 0x40f, v16
	v_and_or_b32 v0, 0x1ff, v1, v0
	v_bfe_u32 v21, v1, 20, 11
	v_or_b32_e32 v16, 0x1000, v8
	v_cndmask_b32_e32 v3, v5, v3, vcc_lo
	v_or_b32_e32 v5, v19, v15
	v_lshl_or_b32 v15, v17, 12, v12
	v_med3_i32 v19, v20, 0, 13
	v_cmp_gt_i32_e32 vcc_lo, 1, v17
	v_lshrrev_b32_e32 v20, 8, v1
	v_and_or_b32 v3, 0x8000, v4, v3
	v_sub_nc_u32_e32 v4, 0x3f1, v21
	v_cndmask_b32_e32 v5, v15, v5, vcc_lo
	v_lshrrev_b32_e32 v15, v19, v16
	v_cmp_ne_u32_e32 vcc_lo, 0, v0
	v_med3_i32 v4, v4, 0, 13
	v_and_b32_e32 v3, 0xffff, v3
	v_and_b32_e32 v23, 7, v5
	v_lshlrev_b32_e32 v19, v19, v15
	v_cndmask_b32_e64 v0, 0, 1, vcc_lo
	v_lshrrev_b32_e32 v5, 2, v5
	v_cmp_lt_i32_e32 vcc_lo, 5, v23
	v_cmp_ne_u32_e64 s0, v19, v16
	v_and_or_b32 v0, 0xffe, v20, v0
	v_add_nc_u32_e32 v20, 0xfffffc10, v22
	v_cndmask_b32_e64 v16, 0, 1, s0
	v_cmp_eq_u32_e64 s0, 3, v23
	v_or_b32_e32 v19, 0x1000, v0
	v_lshl_or_b32 v22, v20, 12, v8
	v_or_b32_e32 v15, v15, v16
	s_or_b32 vcc_lo, s0, vcc_lo
	v_lshrrev_b32_e32 v16, v4, v19
	v_add_co_ci_u32_e32 v5, vcc_lo, 0, v5, vcc_lo
	v_cmp_gt_i32_e32 vcc_lo, 1, v20
	v_lshlrev_b32_e32 v4, v4, v16
	v_cndmask_b32_e32 v15, v22, v15, vcc_lo
	v_cmp_ne_u32_e32 vcc_lo, 0, v12
	v_cndmask_b32_e64 v12, 0, 1, vcc_lo
	v_cmp_ne_u32_e32 vcc_lo, v4, v19
	v_add_nc_u32_e32 v19, 0xfffffc10, v21
	v_and_b32_e32 v21, 7, v15
	v_lshl_or_b32 v12, v12, 9, 0x7c00
	v_cndmask_b32_e64 v4, 0, 1, vcc_lo
	v_cmp_gt_i32_e32 vcc_lo, 31, v17
	v_cmp_gt_i32_e64 s1, 1, v19
	v_cmp_eq_u32_e64 s0, 3, v21
	v_or_b32_e32 v4, v16, v4
	v_lshl_or_b32 v16, v19, 12, v0
	v_cndmask_b32_e32 v5, 0x7c00, v5, vcc_lo
	v_cmp_lt_i32_e32 vcc_lo, 5, v21
	v_cndmask_b32_e64 v4, v16, v4, s1
	v_cmp_eq_u32_e64 s1, 0x40f, v17
	s_or_b32 vcc_lo, s0, vcc_lo
	v_cndmask_b32_e64 v5, v5, v12, s1
	v_lshrrev_b32_e32 v12, 2, v15
	v_and_b32_e32 v15, 7, v4
	v_lshrrev_b32_e32 v4, 2, v4
	v_cmp_gt_i32_e64 s1, 31, v20
	v_and_or_b32 v2, 0x8000, v2, v5
	v_add_co_ci_u32_e32 v12, vcc_lo, 0, v12, vcc_lo
	v_cmp_ne_u32_e32 vcc_lo, 0, v8
	v_cmp_eq_u32_e64 s0, 3, v15
	v_cndmask_b32_e64 v12, 0x7c00, v12, s1
	v_cndmask_b32_e64 v8, 0, 1, vcc_lo
	v_cmp_lt_i32_e32 vcc_lo, 5, v15
	v_lshl_or_b32 v8, v8, 9, 0x7c00
	s_or_b32 vcc_lo, s0, vcc_lo
	v_add_co_ci_u32_e32 v4, vcc_lo, 0, v4, vcc_lo
	v_cmp_ne_u32_e32 vcc_lo, 0, v0
	v_cndmask_b32_e64 v0, 0, 1, vcc_lo
	v_cmp_eq_u32_e32 vcc_lo, 0x40f, v20
	v_lshl_or_b32 v0, v0, 9, 0x7c00
	v_cndmask_b32_e32 v8, v12, v8, vcc_lo
	v_cmp_gt_i32_e32 vcc_lo, 31, v19
	v_and_or_b32 v5, 0x8000, v9, v8
	v_cndmask_b32_e32 v4, 0x7c00, v4, vcc_lo
	v_cmp_eq_u32_e32 vcc_lo, 0x40f, v19
	v_lshrrev_b32_e32 v8, 16, v1
	v_lshl_or_b32 v9, v2, 16, v3
	v_and_b32_e32 v5, 0xffff, v5
	v_cndmask_b32_e32 v4, v4, v0, vcc_lo
	v_add_co_u32 v0, vcc_lo, v6, s2
	v_add_co_ci_u32_e32 v1, vcc_lo, s3, v7, vcc_lo
	v_and_or_b32 v4, 0x8000, v8, v4
	v_add_co_u32 v2, vcc_lo, v0, s2
	v_add_co_ci_u32_e32 v3, vcc_lo, s3, v1, vcc_lo
	v_lshl_or_b32 v8, v4, 16, v5
	v_add_co_u32 v4, vcc_lo, v2, s2
	v_add_co_ci_u32_e32 v5, vcc_lo, s3, v3, vcc_lo
	global_store_dword v[10:11], v18, off
	global_store_dword v[6:7], v14, off
	;; [unrolled: 1-line block ×5, first 2 shown]
.LBB0_10:
	s_endpgm
	.section	.rodata,"a",@progbits
	.p2align	6, 0x0
	.amdhsa_kernel bluestein_single_back_len22_dim1_half_op_CI_CI
		.amdhsa_group_segment_fixed_size 2816
		.amdhsa_private_segment_fixed_size 0
		.amdhsa_kernarg_size 104
		.amdhsa_user_sgpr_count 6
		.amdhsa_user_sgpr_private_segment_buffer 1
		.amdhsa_user_sgpr_dispatch_ptr 0
		.amdhsa_user_sgpr_queue_ptr 0
		.amdhsa_user_sgpr_kernarg_segment_ptr 1
		.amdhsa_user_sgpr_dispatch_id 0
		.amdhsa_user_sgpr_flat_scratch_init 0
		.amdhsa_user_sgpr_private_segment_size 0
		.amdhsa_wavefront_size32 1
		.amdhsa_uses_dynamic_stack 0
		.amdhsa_system_sgpr_private_segment_wavefront_offset 0
		.amdhsa_system_sgpr_workgroup_id_x 1
		.amdhsa_system_sgpr_workgroup_id_y 0
		.amdhsa_system_sgpr_workgroup_id_z 0
		.amdhsa_system_sgpr_workgroup_info 0
		.amdhsa_system_vgpr_workitem_id 0
		.amdhsa_next_free_vgpr 119
		.amdhsa_next_free_sgpr 20
		.amdhsa_reserve_vcc 1
		.amdhsa_reserve_flat_scratch 0
		.amdhsa_float_round_mode_32 0
		.amdhsa_float_round_mode_16_64 0
		.amdhsa_float_denorm_mode_32 3
		.amdhsa_float_denorm_mode_16_64 3
		.amdhsa_dx10_clamp 1
		.amdhsa_ieee_mode 1
		.amdhsa_fp16_overflow 0
		.amdhsa_workgroup_processor_mode 1
		.amdhsa_memory_ordered 1
		.amdhsa_forward_progress 0
		.amdhsa_shared_vgpr_count 0
		.amdhsa_exception_fp_ieee_invalid_op 0
		.amdhsa_exception_fp_denorm_src 0
		.amdhsa_exception_fp_ieee_div_zero 0
		.amdhsa_exception_fp_ieee_overflow 0
		.amdhsa_exception_fp_ieee_underflow 0
		.amdhsa_exception_fp_ieee_inexact 0
		.amdhsa_exception_int_div_zero 0
	.end_amdhsa_kernel
	.text
.Lfunc_end0:
	.size	bluestein_single_back_len22_dim1_half_op_CI_CI, .Lfunc_end0-bluestein_single_back_len22_dim1_half_op_CI_CI
                                        ; -- End function
	.section	.AMDGPU.csdata,"",@progbits
; Kernel info:
; codeLenInByte = 13800
; NumSgprs: 22
; NumVgprs: 119
; ScratchSize: 0
; MemoryBound: 0
; FloatMode: 240
; IeeeMode: 1
; LDSByteSize: 2816 bytes/workgroup (compile time only)
; SGPRBlocks: 2
; VGPRBlocks: 14
; NumSGPRsForWavesPerEU: 22
; NumVGPRsForWavesPerEU: 119
; Occupancy: 8
; WaveLimiterHint : 1
; COMPUTE_PGM_RSRC2:SCRATCH_EN: 0
; COMPUTE_PGM_RSRC2:USER_SGPR: 6
; COMPUTE_PGM_RSRC2:TRAP_HANDLER: 0
; COMPUTE_PGM_RSRC2:TGID_X_EN: 1
; COMPUTE_PGM_RSRC2:TGID_Y_EN: 0
; COMPUTE_PGM_RSRC2:TGID_Z_EN: 0
; COMPUTE_PGM_RSRC2:TIDIG_COMP_CNT: 0
	.text
	.p2alignl 6, 3214868480
	.fill 48, 4, 3214868480
	.type	__hip_cuid_7edc3345032ba06a,@object ; @__hip_cuid_7edc3345032ba06a
	.section	.bss,"aw",@nobits
	.globl	__hip_cuid_7edc3345032ba06a
__hip_cuid_7edc3345032ba06a:
	.byte	0                               ; 0x0
	.size	__hip_cuid_7edc3345032ba06a, 1

	.ident	"AMD clang version 19.0.0git (https://github.com/RadeonOpenCompute/llvm-project roc-6.4.0 25133 c7fe45cf4b819c5991fe208aaa96edf142730f1d)"
	.section	".note.GNU-stack","",@progbits
	.addrsig
	.addrsig_sym __hip_cuid_7edc3345032ba06a
	.amdgpu_metadata
---
amdhsa.kernels:
  - .args:
      - .actual_access:  read_only
        .address_space:  global
        .offset:         0
        .size:           8
        .value_kind:     global_buffer
      - .actual_access:  read_only
        .address_space:  global
        .offset:         8
        .size:           8
        .value_kind:     global_buffer
      - .actual_access:  read_only
        .address_space:  global
        .offset:         16
        .size:           8
        .value_kind:     global_buffer
      - .actual_access:  read_only
        .address_space:  global
        .offset:         24
        .size:           8
        .value_kind:     global_buffer
      - .actual_access:  read_only
        .address_space:  global
        .offset:         32
        .size:           8
        .value_kind:     global_buffer
      - .offset:         40
        .size:           8
        .value_kind:     by_value
      - .address_space:  global
        .offset:         48
        .size:           8
        .value_kind:     global_buffer
      - .address_space:  global
        .offset:         56
        .size:           8
        .value_kind:     global_buffer
      - .address_space:  global
        .offset:         64
        .size:           8
        .value_kind:     global_buffer
      - .address_space:  global
        .offset:         72
        .size:           8
        .value_kind:     global_buffer
      - .offset:         80
        .size:           4
        .value_kind:     by_value
      - .address_space:  global
        .offset:         88
        .size:           8
        .value_kind:     global_buffer
      - .address_space:  global
        .offset:         96
        .size:           8
        .value_kind:     global_buffer
    .group_segment_fixed_size: 2816
    .kernarg_segment_align: 8
    .kernarg_segment_size: 104
    .language:       OpenCL C
    .language_version:
      - 2
      - 0
    .max_flat_workgroup_size: 64
    .name:           bluestein_single_back_len22_dim1_half_op_CI_CI
    .private_segment_fixed_size: 0
    .sgpr_count:     22
    .sgpr_spill_count: 0
    .symbol:         bluestein_single_back_len22_dim1_half_op_CI_CI.kd
    .uniform_work_group_size: 1
    .uses_dynamic_stack: false
    .vgpr_count:     119
    .vgpr_spill_count: 0
    .wavefront_size: 32
    .workgroup_processor_mode: 1
amdhsa.target:   amdgcn-amd-amdhsa--gfx1030
amdhsa.version:
  - 1
  - 2
...

	.end_amdgpu_metadata
